;; amdgpu-corpus repo=ParRes/Kernels kind=compiled arch=gfx90a opt=O3
	.text
	.amdgcn_target "amdgcn-amd-amdhsa--gfx90a"
	.amdhsa_code_object_version 6
	.protected	_Z5star1iPKdPd          ; -- Begin function _Z5star1iPKdPd
	.globl	_Z5star1iPKdPd
	.p2align	8
	.type	_Z5star1iPKdPd,@function
_Z5star1iPKdPd:                         ; @_Z5star1iPKdPd
; %bb.0:
	s_load_dword s0, s[4:5], 0x24
	s_load_dword s8, s[4:5], 0x0
	v_and_b32_e32 v1, 0x3ff, v0
	v_bfe_u32 v0, v0, 10, 10
	s_waitcnt lgkmcnt(0)
	s_lshr_b32 s1, s0, 16
	s_and_b32 s0, s0, 0xffff
	s_mul_i32 s6, s6, s0
	s_mul_i32 s7, s7, s1
	v_add_u32_e32 v1, s6, v1
	v_add_u32_e32 v0, s7, v0
	s_add_i32 s0, s8, -1
	v_max_i32_e32 v2, v1, v0
	v_cmp_gt_i32_e32 vcc, s0, v2
	v_min_i32_e32 v2, v0, v1
	v_cmp_lt_i32_e64 s[0:1], 0, v2
	s_and_b64 s[0:1], s[0:1], vcc
	s_and_saveexec_b64 s[2:3], s[0:1]
	s_cbranch_execz .LBB0_2
; %bb.1:
	s_load_dwordx4 s[0:3], s[4:5], 0x8
	v_mul_lo_u32 v1, v1, s8
	v_ashrrev_i32_e32 v3, 31, v1
	v_ashrrev_i32_e32 v4, 31, v0
	v_add_co_u32_e32 v2, vcc, v0, v1
	v_addc_co_u32_e32 v3, vcc, v4, v3, vcc
	v_subrev_u32_e32 v6, s8, v1
	v_lshlrev_b64 v[2:3], 3, v[2:3]
	v_add_u32_e32 v6, v6, v0
	s_waitcnt lgkmcnt(0)
	v_mov_b32_e32 v4, s1
	v_add_co_u32_e32 v2, vcc, s0, v2
	v_ashrrev_i32_e32 v7, 31, v6
	v_addc_co_u32_e32 v3, vcc, v4, v3, vcc
	v_lshlrev_b64 v[8:9], 3, v[6:7]
	v_mov_b32_e32 v7, s1
	v_add_co_u32_e32 v8, vcc, s0, v8
	v_lshl_add_u32 v6, s8, 1, v6
	v_addc_co_u32_e32 v9, vcc, v7, v9, vcc
	v_ashrrev_i32_e32 v7, 31, v6
	v_lshlrev_b64 v[6:7], 3, v[6:7]
	v_mov_b32_e32 v10, s1
	v_add_co_u32_e32 v6, vcc, s0, v6
	v_add_u32_e32 v0, v1, v0
	v_addc_co_u32_e32 v7, vcc, v10, v7, vcc
	v_ashrrev_i32_e32 v1, 31, v0
	global_load_dwordx2 v[4:5], v[2:3], off offset:-8
	global_load_dwordx2 v[10:11], v[6:7], off
	global_load_dwordx2 v[12:13], v[8:9], off
	global_load_dwordx2 v[14:15], v[2:3], off offset:8
	v_lshlrev_b64 v[0:1], 3, v[0:1]
	v_mov_b32_e32 v2, s3
	v_add_co_u32_e32 v0, vcc, s2, v0
	v_addc_co_u32_e32 v1, vcc, v2, v1, vcc
	global_load_dwordx2 v[2:3], v[0:1], off
	s_waitcnt vmcnt(2)
	v_mul_f64 v[6:7], v[12:13], -0.5
	v_fmac_f64_e32 v[6:7], -0.5, v[4:5]
	v_fmac_f64_e32 v[6:7], 0.5, v[10:11]
	s_waitcnt vmcnt(1)
	v_fmac_f64_e32 v[6:7], 0.5, v[14:15]
	s_waitcnt vmcnt(0)
	v_add_f64 v[2:3], v[2:3], v[6:7]
	global_store_dwordx2 v[0:1], v[2:3], off
.LBB0_2:
	s_endpgm
	.section	.rodata,"a",@progbits
	.p2align	6, 0x0
	.amdhsa_kernel _Z5star1iPKdPd
		.amdhsa_group_segment_fixed_size 0
		.amdhsa_private_segment_fixed_size 0
		.amdhsa_kernarg_size 280
		.amdhsa_user_sgpr_count 6
		.amdhsa_user_sgpr_private_segment_buffer 1
		.amdhsa_user_sgpr_dispatch_ptr 0
		.amdhsa_user_sgpr_queue_ptr 0
		.amdhsa_user_sgpr_kernarg_segment_ptr 1
		.amdhsa_user_sgpr_dispatch_id 0
		.amdhsa_user_sgpr_flat_scratch_init 0
		.amdhsa_user_sgpr_kernarg_preload_length 0
		.amdhsa_user_sgpr_kernarg_preload_offset 0
		.amdhsa_user_sgpr_private_segment_size 0
		.amdhsa_uses_dynamic_stack 0
		.amdhsa_system_sgpr_private_segment_wavefront_offset 0
		.amdhsa_system_sgpr_workgroup_id_x 1
		.amdhsa_system_sgpr_workgroup_id_y 1
		.amdhsa_system_sgpr_workgroup_id_z 0
		.amdhsa_system_sgpr_workgroup_info 0
		.amdhsa_system_vgpr_workitem_id 1
		.amdhsa_next_free_vgpr 16
		.amdhsa_next_free_sgpr 9
		.amdhsa_accum_offset 16
		.amdhsa_reserve_vcc 1
		.amdhsa_reserve_flat_scratch 0
		.amdhsa_float_round_mode_32 0
		.amdhsa_float_round_mode_16_64 0
		.amdhsa_float_denorm_mode_32 3
		.amdhsa_float_denorm_mode_16_64 3
		.amdhsa_dx10_clamp 1
		.amdhsa_ieee_mode 1
		.amdhsa_fp16_overflow 0
		.amdhsa_tg_split 0
		.amdhsa_exception_fp_ieee_invalid_op 0
		.amdhsa_exception_fp_denorm_src 0
		.amdhsa_exception_fp_ieee_div_zero 0
		.amdhsa_exception_fp_ieee_overflow 0
		.amdhsa_exception_fp_ieee_underflow 0
		.amdhsa_exception_fp_ieee_inexact 0
		.amdhsa_exception_int_div_zero 0
	.end_amdhsa_kernel
	.text
.Lfunc_end0:
	.size	_Z5star1iPKdPd, .Lfunc_end0-_Z5star1iPKdPd
                                        ; -- End function
	.section	.AMDGPU.csdata,"",@progbits
; Kernel info:
; codeLenInByte = 340
; NumSgprs: 13
; NumVgprs: 16
; NumAgprs: 0
; TotalNumVgprs: 16
; ScratchSize: 0
; MemoryBound: 0
; FloatMode: 240
; IeeeMode: 1
; LDSByteSize: 0 bytes/workgroup (compile time only)
; SGPRBlocks: 1
; VGPRBlocks: 1
; NumSGPRsForWavesPerEU: 13
; NumVGPRsForWavesPerEU: 16
; AccumOffset: 16
; Occupancy: 8
; WaveLimiterHint : 0
; COMPUTE_PGM_RSRC2:SCRATCH_EN: 0
; COMPUTE_PGM_RSRC2:USER_SGPR: 6
; COMPUTE_PGM_RSRC2:TRAP_HANDLER: 0
; COMPUTE_PGM_RSRC2:TGID_X_EN: 1
; COMPUTE_PGM_RSRC2:TGID_Y_EN: 1
; COMPUTE_PGM_RSRC2:TGID_Z_EN: 0
; COMPUTE_PGM_RSRC2:TIDIG_COMP_CNT: 1
; COMPUTE_PGM_RSRC3_GFX90A:ACCUM_OFFSET: 3
; COMPUTE_PGM_RSRC3_GFX90A:TG_SPLIT: 0
	.text
	.protected	_Z5star2iPKdPd          ; -- Begin function _Z5star2iPKdPd
	.globl	_Z5star2iPKdPd
	.p2align	8
	.type	_Z5star2iPKdPd,@function
_Z5star2iPKdPd:                         ; @_Z5star2iPKdPd
; %bb.0:
	s_load_dword s0, s[4:5], 0x24
	s_load_dword s8, s[4:5], 0x0
	v_and_b32_e32 v1, 0x3ff, v0
	v_bfe_u32 v0, v0, 10, 10
	s_waitcnt lgkmcnt(0)
	s_lshr_b32 s1, s0, 16
	s_and_b32 s0, s0, 0xffff
	s_mul_i32 s6, s6, s0
	s_mul_i32 s7, s7, s1
	v_add_u32_e32 v1, s6, v1
	v_add_u32_e32 v0, s7, v0
	s_add_i32 s0, s8, -2
	v_max_i32_e32 v2, v1, v0
	v_cmp_gt_i32_e32 vcc, s0, v2
	v_min_i32_e32 v2, v0, v1
	v_cmp_lt_i32_e64 s[0:1], 1, v2
	s_and_b64 s[0:1], s[0:1], vcc
	s_and_saveexec_b64 s[2:3], s[0:1]
	s_cbranch_execz .LBB1_2
; %bb.1:
	s_load_dwordx4 s[0:3], s[4:5], 0x8
	v_mul_lo_u32 v1, v1, s8
	v_ashrrev_i32_e32 v3, 31, v1
	v_ashrrev_i32_e32 v4, 31, v0
	v_add_co_u32_e32 v2, vcc, v0, v1
	v_addc_co_u32_e32 v3, vcc, v4, v3, vcc
	v_lshlrev_b64 v[2:3], 3, v[2:3]
	s_lshl_b32 s4, s8, 1
	s_waitcnt lgkmcnt(0)
	v_add_co_u32_e32 v10, vcc, s0, v2
	v_subrev_u32_e32 v2, s4, v1
	v_mov_b32_e32 v4, s1
	v_add_u32_e32 v2, v2, v0
	v_addc_co_u32_e32 v11, vcc, v4, v3, vcc
	v_ashrrev_i32_e32 v3, 31, v2
	v_lshlrev_b64 v[4:5], 3, v[2:3]
	v_mov_b32_e32 v3, s1
	v_add_co_u32_e32 v12, vcc, s0, v4
	v_add_u32_e32 v2, s8, v2
	v_addc_co_u32_e32 v13, vcc, v3, v5, vcc
	v_ashrrev_i32_e32 v3, 31, v2
	v_lshlrev_b64 v[4:5], 3, v[2:3]
	v_mov_b32_e32 v3, s1
	v_add_co_u32_e32 v14, vcc, s0, v4
	;; [unrolled: 6-line block ×4, first 2 shown]
	v_addc_co_u32_e32 v19, vcc, v4, v3, vcc
	global_load_dwordx2 v[20:21], v[12:13], off
	global_load_dwordx2 v[22:23], v[14:15], off
	;; [unrolled: 1-line block ×4, first 2 shown]
	global_load_dwordx4 v[2:5], v[10:11], off offset:-16
	global_load_dwordx4 v[6:9], v[10:11], off offset:8
	v_add_u32_e32 v0, v1, v0
	v_ashrrev_i32_e32 v1, 31, v0
	v_lshlrev_b64 v[0:1], 3, v[0:1]
	v_mov_b32_e32 v10, s3
	v_add_co_u32_e32 v0, vcc, s2, v0
	v_addc_co_u32_e32 v1, vcc, v10, v1, vcc
	global_load_dwordx2 v[10:11], v[0:1], off
	s_waitcnt vmcnt(2)
	v_ldexp_f64 v[4:5], -v[4:5], -2
	v_fmac_f64_e32 v[4:5], 0xbfc00000, v[2:3]
	v_fmac_f64_e32 v[4:5], 0xbfc00000, v[20:21]
	;; [unrolled: 1-line block ×5, first 2 shown]
	s_waitcnt vmcnt(1)
	v_fmac_f64_e32 v[4:5], 0x3fd00000, v[6:7]
	v_fmac_f64_e32 v[4:5], 0x3fc00000, v[8:9]
	s_waitcnt vmcnt(0)
	v_add_f64 v[2:3], v[10:11], v[4:5]
	global_store_dwordx2 v[0:1], v[2:3], off
.LBB1_2:
	s_endpgm
	.section	.rodata,"a",@progbits
	.p2align	6, 0x0
	.amdhsa_kernel _Z5star2iPKdPd
		.amdhsa_group_segment_fixed_size 0
		.amdhsa_private_segment_fixed_size 0
		.amdhsa_kernarg_size 280
		.amdhsa_user_sgpr_count 6
		.amdhsa_user_sgpr_private_segment_buffer 1
		.amdhsa_user_sgpr_dispatch_ptr 0
		.amdhsa_user_sgpr_queue_ptr 0
		.amdhsa_user_sgpr_kernarg_segment_ptr 1
		.amdhsa_user_sgpr_dispatch_id 0
		.amdhsa_user_sgpr_flat_scratch_init 0
		.amdhsa_user_sgpr_kernarg_preload_length 0
		.amdhsa_user_sgpr_kernarg_preload_offset 0
		.amdhsa_user_sgpr_private_segment_size 0
		.amdhsa_uses_dynamic_stack 0
		.amdhsa_system_sgpr_private_segment_wavefront_offset 0
		.amdhsa_system_sgpr_workgroup_id_x 1
		.amdhsa_system_sgpr_workgroup_id_y 1
		.amdhsa_system_sgpr_workgroup_id_z 0
		.amdhsa_system_sgpr_workgroup_info 0
		.amdhsa_system_vgpr_workitem_id 1
		.amdhsa_next_free_vgpr 28
		.amdhsa_next_free_sgpr 9
		.amdhsa_accum_offset 28
		.amdhsa_reserve_vcc 1
		.amdhsa_reserve_flat_scratch 0
		.amdhsa_float_round_mode_32 0
		.amdhsa_float_round_mode_16_64 0
		.amdhsa_float_denorm_mode_32 3
		.amdhsa_float_denorm_mode_16_64 3
		.amdhsa_dx10_clamp 1
		.amdhsa_ieee_mode 1
		.amdhsa_fp16_overflow 0
		.amdhsa_tg_split 0
		.amdhsa_exception_fp_ieee_invalid_op 0
		.amdhsa_exception_fp_denorm_src 0
		.amdhsa_exception_fp_ieee_div_zero 0
		.amdhsa_exception_fp_ieee_overflow 0
		.amdhsa_exception_fp_ieee_underflow 0
		.amdhsa_exception_fp_ieee_inexact 0
		.amdhsa_exception_int_div_zero 0
	.end_amdhsa_kernel
	.text
.Lfunc_end1:
	.size	_Z5star2iPKdPd, .Lfunc_end1-_Z5star2iPKdPd
                                        ; -- End function
	.section	.AMDGPU.csdata,"",@progbits
; Kernel info:
; codeLenInByte = 456
; NumSgprs: 13
; NumVgprs: 28
; NumAgprs: 0
; TotalNumVgprs: 28
; ScratchSize: 0
; MemoryBound: 0
; FloatMode: 240
; IeeeMode: 1
; LDSByteSize: 0 bytes/workgroup (compile time only)
; SGPRBlocks: 1
; VGPRBlocks: 3
; NumSGPRsForWavesPerEU: 13
; NumVGPRsForWavesPerEU: 28
; AccumOffset: 28
; Occupancy: 8
; WaveLimiterHint : 0
; COMPUTE_PGM_RSRC2:SCRATCH_EN: 0
; COMPUTE_PGM_RSRC2:USER_SGPR: 6
; COMPUTE_PGM_RSRC2:TRAP_HANDLER: 0
; COMPUTE_PGM_RSRC2:TGID_X_EN: 1
; COMPUTE_PGM_RSRC2:TGID_Y_EN: 1
; COMPUTE_PGM_RSRC2:TGID_Z_EN: 0
; COMPUTE_PGM_RSRC2:TIDIG_COMP_CNT: 1
; COMPUTE_PGM_RSRC3_GFX90A:ACCUM_OFFSET: 6
; COMPUTE_PGM_RSRC3_GFX90A:TG_SPLIT: 0
	.text
	.protected	_Z5star3iPKdPd          ; -- Begin function _Z5star3iPKdPd
	.globl	_Z5star3iPKdPd
	.p2align	8
	.type	_Z5star3iPKdPd,@function
_Z5star3iPKdPd:                         ; @_Z5star3iPKdPd
; %bb.0:
	s_load_dword s0, s[4:5], 0x24
	s_load_dword s8, s[4:5], 0x0
	v_and_b32_e32 v1, 0x3ff, v0
	v_bfe_u32 v0, v0, 10, 10
	s_waitcnt lgkmcnt(0)
	s_lshr_b32 s1, s0, 16
	s_and_b32 s0, s0, 0xffff
	s_mul_i32 s6, s6, s0
	s_mul_i32 s7, s7, s1
	v_add_u32_e32 v1, s6, v1
	v_add_u32_e32 v8, s7, v0
	s_add_i32 s0, s8, -3
	v_max_i32_e32 v0, v1, v8
	v_cmp_gt_i32_e32 vcc, s0, v0
	v_min_i32_e32 v0, v8, v1
	v_cmp_lt_i32_e64 s[0:1], 2, v0
	s_and_b64 s[0:1], s[0:1], vcc
	s_and_saveexec_b64 s[2:3], s[0:1]
	s_cbranch_execz .LBB2_2
; %bb.1:
	s_load_dwordx4 s[0:3], s[4:5], 0x8
	v_mul_lo_u32 v9, v1, s8
	v_ashrrev_i32_e32 v1, 31, v9
	v_ashrrev_i32_e32 v2, 31, v8
	v_add_co_u32_e32 v0, vcc, v8, v9
	v_addc_co_u32_e32 v1, vcc, v2, v1, vcc
	v_add_u32_e32 v12, v9, v8
	v_lshlrev_b64 v[0:1], 3, v[0:1]
	v_mad_u64_u32 v[8:9], s[4:5], s8, -3, v[12:13]
	s_waitcnt lgkmcnt(0)
	v_mov_b32_e32 v2, s1
	v_add_co_u32_e32 v6, vcc, s0, v0
	v_ashrrev_i32_e32 v9, 31, v8
	v_addc_co_u32_e32 v7, vcc, v2, v1, vcc
	v_lshlrev_b64 v[10:11], 3, v[8:9]
	v_mov_b32_e32 v9, s1
	v_add_co_u32_e32 v10, vcc, s0, v10
	v_add_u32_e32 v8, s8, v8
	v_addc_co_u32_e32 v11, vcc, v9, v11, vcc
	v_ashrrev_i32_e32 v9, 31, v8
	v_lshlrev_b64 v[14:15], 3, v[8:9]
	v_mov_b32_e32 v9, s1
	v_add_co_u32_e32 v14, vcc, s0, v14
	v_add_u32_e32 v8, s8, v8
	v_addc_co_u32_e32 v15, vcc, v9, v15, vcc
	v_ashrrev_i32_e32 v9, 31, v8
	v_lshlrev_b64 v[16:17], 3, v[8:9]
	v_mov_b32_e32 v9, s1
	v_add_co_u32_e32 v16, vcc, s0, v16
	v_lshl_add_u32 v8, s8, 1, v8
	global_load_dwordx2 v[4:5], v[6:7], off offset:-8
	global_load_dwordx4 v[0:3], v[6:7], off offset:-24
	v_addc_co_u32_e32 v17, vcc, v9, v17, vcc
	v_ashrrev_i32_e32 v9, 31, v8
	v_lshlrev_b64 v[18:19], 3, v[8:9]
	v_mov_b32_e32 v9, s1
	v_add_co_u32_e32 v18, vcc, s0, v18
	v_add_u32_e32 v8, s8, v8
	v_addc_co_u32_e32 v19, vcc, v9, v19, vcc
	v_ashrrev_i32_e32 v9, 31, v8
	global_load_dwordx2 v[20:21], v[10:11], off
	global_load_dwordx2 v[22:23], v[14:15], off
	;; [unrolled: 1-line block ×4, first 2 shown]
	v_lshlrev_b64 v[10:11], 3, v[8:9]
	v_mov_b32_e32 v9, s1
	v_add_co_u32_e32 v14, vcc, s0, v10
	v_add_u32_e32 v8, s8, v8
	v_addc_co_u32_e32 v15, vcc, v9, v11, vcc
	v_ashrrev_i32_e32 v9, 31, v8
	v_lshlrev_b64 v[8:9], 3, v[8:9]
	v_mov_b32_e32 v10, s1
	v_add_co_u32_e32 v16, vcc, s0, v8
	v_ashrrev_i32_e32 v13, 31, v12
	v_addc_co_u32_e32 v17, vcc, v10, v9, vcc
	global_load_dwordx2 v[18:19], v[14:15], off
	global_load_dwordx2 v[28:29], v[16:17], off
	global_load_dwordx2 v[30:31], v[6:7], off offset:24
	global_load_dwordx4 v[8:11], v[6:7], off offset:8
	v_lshlrev_b64 v[6:7], 3, v[12:13]
	v_mov_b32_e32 v12, s3
	v_add_co_u32_e32 v6, vcc, s2, v6
	v_addc_co_u32_e32 v7, vcc, v12, v7, vcc
	global_load_dwordx2 v[12:13], v[6:7], off
	s_mov_b32 s1, 0xbfb55555
	s_mov_b32 s0, 0x55555555
	;; [unrolled: 1-line block ×6, first 2 shown]
	s_waitcnt vmcnt(9)
	v_mul_f64 v[2:3], v[2:3], s[0:1]
	v_fmac_f64_e32 v[2:3], s[2:3], v[0:1]
	v_fmac_f64_e32 v[2:3], s[4:5], v[4:5]
	s_waitcnt vmcnt(8)
	v_fmac_f64_e32 v[2:3], s[2:3], v[20:21]
	s_waitcnt vmcnt(7)
	;; [unrolled: 2-line block ×3, first 2 shown]
	v_fmac_f64_e32 v[2:3], s[4:5], v[24:25]
	s_mov_b32 s1, 0x3fc55555
	s_waitcnt vmcnt(5)
	v_fmac_f64_e32 v[2:3], s[0:1], v[26:27]
	s_mov_b32 s5, 0x3fb55555
	s_mov_b32 s3, 0x3fac71c7
	s_waitcnt vmcnt(4)
	v_fmac_f64_e32 v[2:3], s[4:5], v[18:19]
	s_waitcnt vmcnt(3)
	v_fmac_f64_e32 v[2:3], s[2:3], v[28:29]
	;; [unrolled: 2-line block ×3, first 2 shown]
	v_fmac_f64_e32 v[2:3], s[4:5], v[10:11]
	v_fmac_f64_e32 v[2:3], s[2:3], v[30:31]
	s_waitcnt vmcnt(0)
	v_add_f64 v[0:1], v[12:13], v[2:3]
	global_store_dwordx2 v[6:7], v[0:1], off
.LBB2_2:
	s_endpgm
	.section	.rodata,"a",@progbits
	.p2align	6, 0x0
	.amdhsa_kernel _Z5star3iPKdPd
		.amdhsa_group_segment_fixed_size 0
		.amdhsa_private_segment_fixed_size 0
		.amdhsa_kernarg_size 280
		.amdhsa_user_sgpr_count 6
		.amdhsa_user_sgpr_private_segment_buffer 1
		.amdhsa_user_sgpr_dispatch_ptr 0
		.amdhsa_user_sgpr_queue_ptr 0
		.amdhsa_user_sgpr_kernarg_segment_ptr 1
		.amdhsa_user_sgpr_dispatch_id 0
		.amdhsa_user_sgpr_flat_scratch_init 0
		.amdhsa_user_sgpr_kernarg_preload_length 0
		.amdhsa_user_sgpr_kernarg_preload_offset 0
		.amdhsa_user_sgpr_private_segment_size 0
		.amdhsa_uses_dynamic_stack 0
		.amdhsa_system_sgpr_private_segment_wavefront_offset 0
		.amdhsa_system_sgpr_workgroup_id_x 1
		.amdhsa_system_sgpr_workgroup_id_y 1
		.amdhsa_system_sgpr_workgroup_id_z 0
		.amdhsa_system_sgpr_workgroup_info 0
		.amdhsa_system_vgpr_workitem_id 1
		.amdhsa_next_free_vgpr 32
		.amdhsa_next_free_sgpr 9
		.amdhsa_accum_offset 32
		.amdhsa_reserve_vcc 1
		.amdhsa_reserve_flat_scratch 0
		.amdhsa_float_round_mode_32 0
		.amdhsa_float_round_mode_16_64 0
		.amdhsa_float_denorm_mode_32 3
		.amdhsa_float_denorm_mode_16_64 3
		.amdhsa_dx10_clamp 1
		.amdhsa_ieee_mode 1
		.amdhsa_fp16_overflow 0
		.amdhsa_tg_split 0
		.amdhsa_exception_fp_ieee_invalid_op 0
		.amdhsa_exception_fp_denorm_src 0
		.amdhsa_exception_fp_ieee_div_zero 0
		.amdhsa_exception_fp_ieee_overflow 0
		.amdhsa_exception_fp_ieee_underflow 0
		.amdhsa_exception_fp_ieee_inexact 0
		.amdhsa_exception_int_div_zero 0
	.end_amdhsa_kernel
	.text
.Lfunc_end2:
	.size	_Z5star3iPKdPd, .Lfunc_end2-_Z5star3iPKdPd
                                        ; -- End function
	.section	.AMDGPU.csdata,"",@progbits
; Kernel info:
; codeLenInByte = 624
; NumSgprs: 13
; NumVgprs: 32
; NumAgprs: 0
; TotalNumVgprs: 32
; ScratchSize: 0
; MemoryBound: 0
; FloatMode: 240
; IeeeMode: 1
; LDSByteSize: 0 bytes/workgroup (compile time only)
; SGPRBlocks: 1
; VGPRBlocks: 3
; NumSGPRsForWavesPerEU: 13
; NumVGPRsForWavesPerEU: 32
; AccumOffset: 32
; Occupancy: 8
; WaveLimiterHint : 0
; COMPUTE_PGM_RSRC2:SCRATCH_EN: 0
; COMPUTE_PGM_RSRC2:USER_SGPR: 6
; COMPUTE_PGM_RSRC2:TRAP_HANDLER: 0
; COMPUTE_PGM_RSRC2:TGID_X_EN: 1
; COMPUTE_PGM_RSRC2:TGID_Y_EN: 1
; COMPUTE_PGM_RSRC2:TGID_Z_EN: 0
; COMPUTE_PGM_RSRC2:TIDIG_COMP_CNT: 1
; COMPUTE_PGM_RSRC3_GFX90A:ACCUM_OFFSET: 7
; COMPUTE_PGM_RSRC3_GFX90A:TG_SPLIT: 0
	.text
	.protected	_Z5star4iPKdPd          ; -- Begin function _Z5star4iPKdPd
	.globl	_Z5star4iPKdPd
	.p2align	8
	.type	_Z5star4iPKdPd,@function
_Z5star4iPKdPd:                         ; @_Z5star4iPKdPd
; %bb.0:
	s_load_dword s0, s[4:5], 0x24
	s_load_dword s8, s[4:5], 0x0
	v_and_b32_e32 v1, 0x3ff, v0
	v_bfe_u32 v0, v0, 10, 10
	s_waitcnt lgkmcnt(0)
	s_lshr_b32 s1, s0, 16
	s_and_b32 s0, s0, 0xffff
	s_mul_i32 s6, s6, s0
	s_mul_i32 s7, s7, s1
	v_add_u32_e32 v1, s6, v1
	v_add_u32_e32 v10, s7, v0
	s_add_i32 s0, s8, -4
	v_max_i32_e32 v0, v1, v10
	v_cmp_gt_i32_e32 vcc, s0, v0
	v_min_i32_e32 v0, v10, v1
	v_cmp_lt_i32_e64 s[0:1], 3, v0
	s_and_b64 s[0:1], s[0:1], vcc
	s_and_saveexec_b64 s[2:3], s[0:1]
	s_cbranch_execz .LBB3_2
; %bb.1:
	s_load_dwordx4 s[0:3], s[4:5], 0x8
	v_mul_lo_u32 v11, v1, s8
	v_ashrrev_i32_e32 v1, 31, v11
	v_ashrrev_i32_e32 v2, 31, v10
	v_add_co_u32_e32 v0, vcc, v10, v11
	s_lshl_b32 s4, s8, 2
	v_addc_co_u32_e32 v1, vcc, v2, v1, vcc
	v_subrev_u32_e32 v12, s4, v11
	v_lshlrev_b64 v[0:1], 3, v[0:1]
	v_add_u32_e32 v12, v12, v10
	s_waitcnt lgkmcnt(0)
	v_mov_b32_e32 v2, s1
	v_add_co_u32_e32 v8, vcc, s0, v0
	v_ashrrev_i32_e32 v13, 31, v12
	v_addc_co_u32_e32 v9, vcc, v2, v1, vcc
	v_lshlrev_b64 v[14:15], 3, v[12:13]
	v_mov_b32_e32 v13, s1
	v_add_co_u32_e32 v14, vcc, s0, v14
	v_add_u32_e32 v12, s8, v12
	v_addc_co_u32_e32 v15, vcc, v13, v15, vcc
	v_ashrrev_i32_e32 v13, 31, v12
	v_lshlrev_b64 v[16:17], 3, v[12:13]
	v_mov_b32_e32 v13, s1
	v_add_co_u32_e32 v16, vcc, s0, v16
	v_add_u32_e32 v12, s8, v12
	v_addc_co_u32_e32 v17, vcc, v13, v17, vcc
	v_ashrrev_i32_e32 v13, 31, v12
	;; [unrolled: 6-line block ×3, first 2 shown]
	v_lshlrev_b64 v[20:21], 3, v[12:13]
	v_mov_b32_e32 v13, s1
	v_add_co_u32_e32 v20, vcc, s0, v20
	v_lshl_add_u32 v12, s8, 1, v12
	v_addc_co_u32_e32 v21, vcc, v13, v21, vcc
	v_ashrrev_i32_e32 v13, 31, v12
	global_load_dwordx4 v[0:3], v[8:9], off offset:-16
	global_load_dwordx4 v[4:7], v[8:9], off offset:-32
	global_load_dwordx2 v[22:23], v[14:15], off
	global_load_dwordx2 v[24:25], v[16:17], off
	;; [unrolled: 1-line block ×4, first 2 shown]
	v_lshlrev_b64 v[14:15], 3, v[12:13]
	v_mov_b32_e32 v13, s1
	v_add_co_u32_e32 v20, vcc, s0, v14
	v_add_u32_e32 v12, s8, v12
	v_addc_co_u32_e32 v21, vcc, v13, v15, vcc
	v_ashrrev_i32_e32 v13, 31, v12
	v_lshlrev_b64 v[14:15], 3, v[12:13]
	v_mov_b32_e32 v13, s1
	v_add_co_u32_e32 v30, vcc, s0, v14
	v_add_u32_e32 v12, s8, v12
	v_addc_co_u32_e32 v31, vcc, v13, v15, vcc
	v_ashrrev_i32_e32 v13, 31, v12
	;; [unrolled: 6-line block ×3, first 2 shown]
	v_lshlrev_b64 v[12:13], 3, v[12:13]
	v_mov_b32_e32 v14, s1
	v_add_co_u32_e32 v34, vcc, s0, v12
	v_addc_co_u32_e32 v35, vcc, v14, v13, vcc
	global_load_dwordx2 v[36:37], v[20:21], off
	global_load_dwordx2 v[38:39], v[30:31], off
	;; [unrolled: 1-line block ×4, first 2 shown]
	global_load_dwordx4 v[12:15], v[8:9], off offset:24
	global_load_dwordx4 v[16:19], v[8:9], off offset:8
	v_add_u32_e32 v8, v11, v10
	v_ashrrev_i32_e32 v9, 31, v8
	v_lshlrev_b64 v[8:9], 3, v[8:9]
	v_mov_b32_e32 v10, s3
	v_add_co_u32_e32 v8, vcc, s2, v8
	v_addc_co_u32_e32 v9, vcc, v10, v9, vcc
	global_load_dwordx2 v[10:11], v[8:9], off
	s_mov_b32 s1, 0xbfa55555
	s_mov_b32 s0, 0x55555555
	s_waitcnt vmcnt(11)
	v_mul_f64 v[6:7], v[6:7], s[0:1]
	v_fmac_f64_e32 v[6:7], 0xbfa00000, v[4:5]
	v_fmac_f64_e32 v[6:7], 0xbfb00000, v[0:1]
	;; [unrolled: 1-line block ×3, first 2 shown]
	s_waitcnt vmcnt(10)
	v_fmac_f64_e32 v[6:7], 0xbfa00000, v[22:23]
	s_waitcnt vmcnt(9)
	v_fmac_f64_e32 v[6:7], s[0:1], v[24:25]
	s_waitcnt vmcnt(8)
	v_fmac_f64_e32 v[6:7], 0xbfb00000, v[26:27]
	s_waitcnt vmcnt(7)
	v_fmac_f64_e32 v[6:7], 0xbfc00000, v[28:29]
	s_mov_b32 s1, 0x3fa55555
	s_waitcnt vmcnt(6)
	v_fmac_f64_e32 v[6:7], 0x3fc00000, v[36:37]
	s_waitcnt vmcnt(5)
	v_fmac_f64_e32 v[6:7], 0x3fb00000, v[38:39]
	;; [unrolled: 2-line block ×5, first 2 shown]
	v_fmac_f64_e32 v[6:7], 0x3fb00000, v[18:19]
	v_fmac_f64_e32 v[6:7], s[0:1], v[12:13]
	;; [unrolled: 1-line block ×3, first 2 shown]
	s_waitcnt vmcnt(0)
	v_add_f64 v[0:1], v[10:11], v[6:7]
	global_store_dwordx2 v[8:9], v[0:1], off
.LBB3_2:
	s_endpgm
	.section	.rodata,"a",@progbits
	.p2align	6, 0x0
	.amdhsa_kernel _Z5star4iPKdPd
		.amdhsa_group_segment_fixed_size 0
		.amdhsa_private_segment_fixed_size 0
		.amdhsa_kernarg_size 280
		.amdhsa_user_sgpr_count 6
		.amdhsa_user_sgpr_private_segment_buffer 1
		.amdhsa_user_sgpr_dispatch_ptr 0
		.amdhsa_user_sgpr_queue_ptr 0
		.amdhsa_user_sgpr_kernarg_segment_ptr 1
		.amdhsa_user_sgpr_dispatch_id 0
		.amdhsa_user_sgpr_flat_scratch_init 0
		.amdhsa_user_sgpr_kernarg_preload_length 0
		.amdhsa_user_sgpr_kernarg_preload_offset 0
		.amdhsa_user_sgpr_private_segment_size 0
		.amdhsa_uses_dynamic_stack 0
		.amdhsa_system_sgpr_private_segment_wavefront_offset 0
		.amdhsa_system_sgpr_workgroup_id_x 1
		.amdhsa_system_sgpr_workgroup_id_y 1
		.amdhsa_system_sgpr_workgroup_id_z 0
		.amdhsa_system_sgpr_workgroup_info 0
		.amdhsa_system_vgpr_workitem_id 1
		.amdhsa_next_free_vgpr 44
		.amdhsa_next_free_sgpr 9
		.amdhsa_accum_offset 44
		.amdhsa_reserve_vcc 1
		.amdhsa_reserve_flat_scratch 0
		.amdhsa_float_round_mode_32 0
		.amdhsa_float_round_mode_16_64 0
		.amdhsa_float_denorm_mode_32 3
		.amdhsa_float_denorm_mode_16_64 3
		.amdhsa_dx10_clamp 1
		.amdhsa_ieee_mode 1
		.amdhsa_fp16_overflow 0
		.amdhsa_tg_split 0
		.amdhsa_exception_fp_ieee_invalid_op 0
		.amdhsa_exception_fp_denorm_src 0
		.amdhsa_exception_fp_ieee_div_zero 0
		.amdhsa_exception_fp_ieee_overflow 0
		.amdhsa_exception_fp_ieee_underflow 0
		.amdhsa_exception_fp_ieee_inexact 0
		.amdhsa_exception_int_div_zero 0
	.end_amdhsa_kernel
	.text
.Lfunc_end3:
	.size	_Z5star4iPKdPd, .Lfunc_end3-_Z5star4iPKdPd
                                        ; -- End function
	.section	.AMDGPU.csdata,"",@progbits
; Kernel info:
; codeLenInByte = 728
; NumSgprs: 13
; NumVgprs: 44
; NumAgprs: 0
; TotalNumVgprs: 44
; ScratchSize: 0
; MemoryBound: 0
; FloatMode: 240
; IeeeMode: 1
; LDSByteSize: 0 bytes/workgroup (compile time only)
; SGPRBlocks: 1
; VGPRBlocks: 5
; NumSGPRsForWavesPerEU: 13
; NumVGPRsForWavesPerEU: 44
; AccumOffset: 44
; Occupancy: 8
; WaveLimiterHint : 0
; COMPUTE_PGM_RSRC2:SCRATCH_EN: 0
; COMPUTE_PGM_RSRC2:USER_SGPR: 6
; COMPUTE_PGM_RSRC2:TRAP_HANDLER: 0
; COMPUTE_PGM_RSRC2:TGID_X_EN: 1
; COMPUTE_PGM_RSRC2:TGID_Y_EN: 1
; COMPUTE_PGM_RSRC2:TGID_Z_EN: 0
; COMPUTE_PGM_RSRC2:TIDIG_COMP_CNT: 1
; COMPUTE_PGM_RSRC3_GFX90A:ACCUM_OFFSET: 10
; COMPUTE_PGM_RSRC3_GFX90A:TG_SPLIT: 0
	.text
	.protected	_Z5star5iPKdPd          ; -- Begin function _Z5star5iPKdPd
	.globl	_Z5star5iPKdPd
	.p2align	8
	.type	_Z5star5iPKdPd,@function
_Z5star5iPKdPd:                         ; @_Z5star5iPKdPd
; %bb.0:
	s_load_dword s0, s[4:5], 0x24
	s_load_dword s8, s[4:5], 0x0
	v_and_b32_e32 v1, 0x3ff, v0
	v_bfe_u32 v0, v0, 10, 10
	s_waitcnt lgkmcnt(0)
	s_lshr_b32 s1, s0, 16
	s_and_b32 s0, s0, 0xffff
	s_mul_i32 s6, s6, s0
	s_mul_i32 s7, s7, s1
	v_add_u32_e32 v1, s6, v1
	v_add_u32_e32 v12, s7, v0
	s_add_i32 s0, s8, -5
	v_max_i32_e32 v0, v1, v12
	v_cmp_gt_i32_e32 vcc, s0, v0
	v_min_i32_e32 v0, v12, v1
	v_cmp_lt_i32_e64 s[0:1], 4, v0
	s_and_b64 s[0:1], s[0:1], vcc
	s_and_saveexec_b64 s[2:3], s[0:1]
	s_cbranch_execz .LBB4_2
; %bb.1:
	s_load_dwordx4 s[0:3], s[4:5], 0x8
	v_mul_lo_u32 v13, v1, s8
	v_ashrrev_i32_e32 v1, 31, v13
	v_ashrrev_i32_e32 v2, 31, v12
	v_add_co_u32_e32 v0, vcc, v12, v13
	v_addc_co_u32_e32 v1, vcc, v2, v1, vcc
	v_add_u32_e32 v12, v13, v12
	v_lshlrev_b64 v[0:1], 3, v[0:1]
	v_mad_u64_u32 v[14:15], s[4:5], s8, -5, v[12:13]
	s_waitcnt lgkmcnt(0)
	v_mov_b32_e32 v2, s1
	v_add_co_u32_e32 v10, vcc, s0, v0
	v_ashrrev_i32_e32 v15, 31, v14
	v_addc_co_u32_e32 v11, vcc, v2, v1, vcc
	v_lshlrev_b64 v[16:17], 3, v[14:15]
	v_add_u32_e32 v14, s8, v14
	v_mov_b32_e32 v13, s1
	v_add_co_u32_e32 v22, vcc, s0, v16
	v_ashrrev_i32_e32 v15, 31, v14
	v_addc_co_u32_e32 v23, vcc, v13, v17, vcc
	v_lshlrev_b64 v[16:17], 3, v[14:15]
	v_add_u32_e32 v14, s8, v14
	v_add_co_u32_e32 v24, vcc, s0, v16
	v_ashrrev_i32_e32 v15, 31, v14
	v_addc_co_u32_e32 v25, vcc, v13, v17, vcc
	v_lshlrev_b64 v[16:17], 3, v[14:15]
	v_add_u32_e32 v28, s8, v14
	v_add_co_u32_e32 v26, vcc, s0, v16
	v_ashrrev_i32_e32 v29, 31, v28
	v_addc_co_u32_e32 v27, vcc, v13, v17, vcc
	v_lshlrev_b64 v[14:15], 3, v[28:29]
	global_load_dwordx2 v[8:9], v[10:11], off offset:-8
	global_load_dwordx4 v[0:3], v[10:11], off offset:-24
	global_load_dwordx4 v[4:7], v[10:11], off offset:-40
	v_add_co_u32_e32 v30, vcc, s0, v14
	v_addc_co_u32_e32 v31, vcc, v13, v15, vcc
	global_load_dwordx2 v[14:15], v[22:23], off
	global_load_dwordx2 v[16:17], v[24:25], off
	;; [unrolled: 1-line block ×4, first 2 shown]
	v_add_u32_e32 v22, s8, v28
	v_ashrrev_i32_e32 v23, 31, v22
	v_lshlrev_b64 v[24:25], 3, v[22:23]
	v_lshl_add_u32 v22, s8, 1, v22
	v_add_co_u32_e32 v24, vcc, s0, v24
	v_ashrrev_i32_e32 v23, 31, v22
	v_addc_co_u32_e32 v25, vcc, v13, v25, vcc
	v_lshlrev_b64 v[26:27], 3, v[22:23]
	v_add_u32_e32 v22, s8, v22
	v_add_co_u32_e32 v26, vcc, s0, v26
	v_ashrrev_i32_e32 v23, 31, v22
	v_addc_co_u32_e32 v27, vcc, v13, v27, vcc
	v_lshlrev_b64 v[28:29], 3, v[22:23]
	v_add_u32_e32 v22, s8, v22
	;; [unrolled: 5-line block ×3, first 2 shown]
	v_add_co_u32_e32 v30, vcc, s0, v30
	v_ashrrev_i32_e32 v23, 31, v22
	v_addc_co_u32_e32 v31, vcc, v13, v31, vcc
	global_load_dwordx2 v[32:33], v[24:25], off
	global_load_dwordx2 v[34:35], v[26:27], off
	;; [unrolled: 1-line block ×4, first 2 shown]
	v_lshlrev_b64 v[24:25], 3, v[22:23]
	v_add_u32_e32 v22, s8, v22
	v_add_co_u32_e32 v30, vcc, s0, v24
	v_ashrrev_i32_e32 v23, 31, v22
	v_addc_co_u32_e32 v31, vcc, v13, v25, vcc
	v_lshlrev_b64 v[22:23], 3, v[22:23]
	v_add_co_u32_e32 v40, vcc, s0, v22
	v_addc_co_u32_e32 v41, vcc, v13, v23, vcc
	global_load_dwordx2 v[42:43], v[30:31], off
	global_load_dwordx2 v[44:45], v[40:41], off
	global_load_dwordx2 v[46:47], v[10:11], off offset:40
	global_load_dwordx4 v[22:25], v[10:11], off offset:24
	global_load_dwordx4 v[26:29], v[10:11], off offset:8
	v_ashrrev_i32_e32 v13, 31, v12
	v_lshlrev_b64 v[10:11], 3, v[12:13]
	v_mov_b32_e32 v12, s3
	v_add_co_u32_e32 v10, vcc, s2, v10
	v_addc_co_u32_e32 v11, vcc, v12, v11, vcc
	global_load_dwordx2 v[12:13], v[10:11], off
	s_mov_b32 s1, 0xbf999999
	s_mov_b32 s0, 0x9999999a
	;; [unrolled: 1-line block ×10, first 2 shown]
	s_waitcnt vmcnt(14)
	v_mul_f64 v[6:7], v[6:7], s[0:1]
	v_fmac_f64_e32 v[6:7], s[2:3], v[4:5]
	v_fmac_f64_e32 v[6:7], s[4:5], v[0:1]
	v_fmac_f64_e32 v[6:7], s[6:7], v[2:3]
	v_fmac_f64_e32 v[6:7], s[8:9], v[8:9]
	s_waitcnt vmcnt(13)
	v_fmac_f64_e32 v[6:7], s[2:3], v[14:15]
	s_waitcnt vmcnt(12)
	v_fmac_f64_e32 v[6:7], s[0:1], v[16:17]
	;; [unrolled: 2-line block ×4, first 2 shown]
	s_mov_b32 s1, 0x3fb99999
	s_mov_b32 s7, 0x3fa99999
	;; [unrolled: 1-line block ×4, first 2 shown]
	s_waitcnt vmcnt(9)
	v_fmac_f64_e32 v[6:7], s[8:9], v[32:33]
	s_waitcnt vmcnt(8)
	v_fmac_f64_e32 v[6:7], s[0:1], v[34:35]
	s_waitcnt vmcnt(7)
	v_fmac_f64_e32 v[6:7], s[6:7], v[36:37]
	s_waitcnt vmcnt(6)
	v_fmac_f64_e32 v[6:7], s[4:5], v[38:39]
	s_mov_b32 s9, 0x3f999999
	s_waitcnt vmcnt(5)
	v_fmac_f64_e32 v[6:7], s[8:9], v[42:43]
	s_waitcnt vmcnt(4)
	v_fmac_f64_e32 v[6:7], s[2:3], v[44:45]
	;; [unrolled: 2-line block ×3, first 2 shown]
	v_fmac_f64_e32 v[6:7], s[6:7], v[28:29]
	v_fmac_f64_e32 v[6:7], s[4:5], v[22:23]
	;; [unrolled: 1-line block ×4, first 2 shown]
	s_waitcnt vmcnt(0)
	v_add_f64 v[0:1], v[12:13], v[6:7]
	global_store_dwordx2 v[10:11], v[0:1], off
.LBB4_2:
	s_endpgm
	.section	.rodata,"a",@progbits
	.p2align	6, 0x0
	.amdhsa_kernel _Z5star5iPKdPd
		.amdhsa_group_segment_fixed_size 0
		.amdhsa_private_segment_fixed_size 0
		.amdhsa_kernarg_size 280
		.amdhsa_user_sgpr_count 6
		.amdhsa_user_sgpr_private_segment_buffer 1
		.amdhsa_user_sgpr_dispatch_ptr 0
		.amdhsa_user_sgpr_queue_ptr 0
		.amdhsa_user_sgpr_kernarg_segment_ptr 1
		.amdhsa_user_sgpr_dispatch_id 0
		.amdhsa_user_sgpr_flat_scratch_init 0
		.amdhsa_user_sgpr_kernarg_preload_length 0
		.amdhsa_user_sgpr_kernarg_preload_offset 0
		.amdhsa_user_sgpr_private_segment_size 0
		.amdhsa_uses_dynamic_stack 0
		.amdhsa_system_sgpr_private_segment_wavefront_offset 0
		.amdhsa_system_sgpr_workgroup_id_x 1
		.amdhsa_system_sgpr_workgroup_id_y 1
		.amdhsa_system_sgpr_workgroup_id_z 0
		.amdhsa_system_sgpr_workgroup_info 0
		.amdhsa_system_vgpr_workitem_id 1
		.amdhsa_next_free_vgpr 48
		.amdhsa_next_free_sgpr 10
		.amdhsa_accum_offset 48
		.amdhsa_reserve_vcc 1
		.amdhsa_reserve_flat_scratch 0
		.amdhsa_float_round_mode_32 0
		.amdhsa_float_round_mode_16_64 0
		.amdhsa_float_denorm_mode_32 3
		.amdhsa_float_denorm_mode_16_64 3
		.amdhsa_dx10_clamp 1
		.amdhsa_ieee_mode 1
		.amdhsa_fp16_overflow 0
		.amdhsa_tg_split 0
		.amdhsa_exception_fp_ieee_invalid_op 0
		.amdhsa_exception_fp_denorm_src 0
		.amdhsa_exception_fp_ieee_div_zero 0
		.amdhsa_exception_fp_ieee_overflow 0
		.amdhsa_exception_fp_ieee_underflow 0
		.amdhsa_exception_fp_ieee_inexact 0
		.amdhsa_exception_int_div_zero 0
	.end_amdhsa_kernel
	.text
.Lfunc_end4:
	.size	_Z5star5iPKdPd, .Lfunc_end4-_Z5star5iPKdPd
                                        ; -- End function
	.section	.AMDGPU.csdata,"",@progbits
; Kernel info:
; codeLenInByte = 840
; NumSgprs: 14
; NumVgprs: 48
; NumAgprs: 0
; TotalNumVgprs: 48
; ScratchSize: 0
; MemoryBound: 0
; FloatMode: 240
; IeeeMode: 1
; LDSByteSize: 0 bytes/workgroup (compile time only)
; SGPRBlocks: 1
; VGPRBlocks: 5
; NumSGPRsForWavesPerEU: 14
; NumVGPRsForWavesPerEU: 48
; AccumOffset: 48
; Occupancy: 8
; WaveLimiterHint : 0
; COMPUTE_PGM_RSRC2:SCRATCH_EN: 0
; COMPUTE_PGM_RSRC2:USER_SGPR: 6
; COMPUTE_PGM_RSRC2:TRAP_HANDLER: 0
; COMPUTE_PGM_RSRC2:TGID_X_EN: 1
; COMPUTE_PGM_RSRC2:TGID_Y_EN: 1
; COMPUTE_PGM_RSRC2:TGID_Z_EN: 0
; COMPUTE_PGM_RSRC2:TIDIG_COMP_CNT: 1
; COMPUTE_PGM_RSRC3_GFX90A:ACCUM_OFFSET: 11
; COMPUTE_PGM_RSRC3_GFX90A:TG_SPLIT: 0
	.text
	.protected	_Z5grid1iPKdPd          ; -- Begin function _Z5grid1iPKdPd
	.globl	_Z5grid1iPKdPd
	.p2align	8
	.type	_Z5grid1iPKdPd,@function
_Z5grid1iPKdPd:                         ; @_Z5grid1iPKdPd
; %bb.0:
	s_load_dword s0, s[4:5], 0x24
	s_load_dword s8, s[4:5], 0x0
	v_and_b32_e32 v1, 0x3ff, v0
	v_bfe_u32 v0, v0, 10, 10
	s_waitcnt lgkmcnt(0)
	s_lshr_b32 s1, s0, 16
	s_and_b32 s0, s0, 0xffff
	s_mul_i32 s6, s6, s0
	s_mul_i32 s7, s7, s1
	v_add_u32_e32 v1, s6, v1
	v_add_u32_e32 v0, s7, v0
	s_add_i32 s0, s8, -1
	v_max_i32_e32 v2, v1, v0
	v_cmp_gt_i32_e32 vcc, s0, v2
	v_min_i32_e32 v2, v0, v1
	v_cmp_lt_i32_e64 s[0:1], 0, v2
	s_and_b64 s[0:1], s[0:1], vcc
	s_and_saveexec_b64 s[2:3], s[0:1]
	s_cbranch_execz .LBB5_2
; %bb.1:
	s_load_dwordx4 s[0:3], s[4:5], 0x8
	v_add_u32_e32 v2, -1, v1
	v_mul_lo_u32 v10, v2, s8
	v_ashrrev_i32_e32 v3, 31, v10
	v_ashrrev_i32_e32 v5, 31, v0
	v_add_co_u32_e32 v2, vcc, v10, v0
	v_addc_co_u32_e32 v3, vcc, v3, v5, vcc
	v_lshlrev_b64 v[2:3], 3, v[2:3]
	s_waitcnt lgkmcnt(0)
	v_mov_b32_e32 v4, s1
	v_add_co_u32_e32 v2, vcc, s0, v2
	v_addc_co_u32_e32 v3, vcc, v4, v3, vcc
	v_mul_lo_u32 v1, v1, s8
	v_ashrrev_i32_e32 v6, 31, v1
	v_add_co_u32_e32 v4, vcc, v0, v1
	v_addc_co_u32_e32 v5, vcc, v5, v6, vcc
	v_lshlrev_b64 v[4:5], 3, v[4:5]
	v_mov_b32_e32 v6, s1
	v_add_co_u32_e32 v4, vcc, s0, v4
	v_addc_co_u32_e32 v5, vcc, v6, v5, vcc
	global_load_dwordx2 v[6:7], v[2:3], off offset:-8
	global_load_dwordx2 v[8:9], v[4:5], off offset:-8
	v_add_u32_e32 v2, v10, v0
	v_ashrrev_i32_e32 v3, 31, v2
	v_add_u32_e32 v12, v1, v0
	v_lshlrev_b64 v[2:3], 3, v[2:3]
	v_add_u32_e32 v0, s8, v12
	v_mov_b32_e32 v11, s1
	v_add_co_u32_e32 v10, vcc, s0, v2
	v_ashrrev_i32_e32 v1, 31, v0
	v_addc_co_u32_e32 v11, vcc, v11, v3, vcc
	v_lshlrev_b64 v[0:1], 3, v[0:1]
	v_mov_b32_e32 v2, s1
	v_add_co_u32_e32 v14, vcc, s0, v0
	v_addc_co_u32_e32 v15, vcc, v2, v1, vcc
	v_ashrrev_i32_e32 v13, 31, v12
	global_load_dwordx4 v[0:3], v[14:15], off
	global_load_dwordx2 v[16:17], v[10:11], off
	global_load_dwordx2 v[18:19], v[4:5], off offset:8
	v_lshlrev_b64 v[4:5], 3, v[12:13]
	v_mov_b32_e32 v10, s3
	v_add_co_u32_e32 v4, vcc, s2, v4
	v_addc_co_u32_e32 v5, vcc, v10, v5, vcc
	global_load_dwordx2 v[10:11], v[4:5], off
	s_waitcnt vmcnt(4)
	v_ldexp_f64 v[8:9], -v[8:9], -2
	v_fmac_f64_e32 v[8:9], 0xbfd00000, v[6:7]
	s_waitcnt vmcnt(2)
	v_fmac_f64_e32 v[8:9], 0xbfd00000, v[16:17]
	v_fmac_f64_e32 v[8:9], 0x3fd00000, v[0:1]
	s_waitcnt vmcnt(1)
	v_fmac_f64_e32 v[8:9], 0x3fd00000, v[18:19]
	v_fmac_f64_e32 v[8:9], 0x3fd00000, v[2:3]
	s_waitcnt vmcnt(0)
	v_add_f64 v[0:1], v[10:11], v[8:9]
	global_store_dwordx2 v[4:5], v[0:1], off
.LBB5_2:
	s_endpgm
	.section	.rodata,"a",@progbits
	.p2align	6, 0x0
	.amdhsa_kernel _Z5grid1iPKdPd
		.amdhsa_group_segment_fixed_size 0
		.amdhsa_private_segment_fixed_size 0
		.amdhsa_kernarg_size 280
		.amdhsa_user_sgpr_count 6
		.amdhsa_user_sgpr_private_segment_buffer 1
		.amdhsa_user_sgpr_dispatch_ptr 0
		.amdhsa_user_sgpr_queue_ptr 0
		.amdhsa_user_sgpr_kernarg_segment_ptr 1
		.amdhsa_user_sgpr_dispatch_id 0
		.amdhsa_user_sgpr_flat_scratch_init 0
		.amdhsa_user_sgpr_kernarg_preload_length 0
		.amdhsa_user_sgpr_kernarg_preload_offset 0
		.amdhsa_user_sgpr_private_segment_size 0
		.amdhsa_uses_dynamic_stack 0
		.amdhsa_system_sgpr_private_segment_wavefront_offset 0
		.amdhsa_system_sgpr_workgroup_id_x 1
		.amdhsa_system_sgpr_workgroup_id_y 1
		.amdhsa_system_sgpr_workgroup_id_z 0
		.amdhsa_system_sgpr_workgroup_info 0
		.amdhsa_system_vgpr_workitem_id 1
		.amdhsa_next_free_vgpr 20
		.amdhsa_next_free_sgpr 9
		.amdhsa_accum_offset 20
		.amdhsa_reserve_vcc 1
		.amdhsa_reserve_flat_scratch 0
		.amdhsa_float_round_mode_32 0
		.amdhsa_float_round_mode_16_64 0
		.amdhsa_float_denorm_mode_32 3
		.amdhsa_float_denorm_mode_16_64 3
		.amdhsa_dx10_clamp 1
		.amdhsa_ieee_mode 1
		.amdhsa_fp16_overflow 0
		.amdhsa_tg_split 0
		.amdhsa_exception_fp_ieee_invalid_op 0
		.amdhsa_exception_fp_denorm_src 0
		.amdhsa_exception_fp_ieee_div_zero 0
		.amdhsa_exception_fp_ieee_overflow 0
		.amdhsa_exception_fp_ieee_underflow 0
		.amdhsa_exception_fp_ieee_inexact 0
		.amdhsa_exception_int_div_zero 0
	.end_amdhsa_kernel
	.text
.Lfunc_end5:
	.size	_Z5grid1iPKdPd, .Lfunc_end5-_Z5grid1iPKdPd
                                        ; -- End function
	.section	.AMDGPU.csdata,"",@progbits
; Kernel info:
; codeLenInByte = 416
; NumSgprs: 13
; NumVgprs: 20
; NumAgprs: 0
; TotalNumVgprs: 20
; ScratchSize: 0
; MemoryBound: 0
; FloatMode: 240
; IeeeMode: 1
; LDSByteSize: 0 bytes/workgroup (compile time only)
; SGPRBlocks: 1
; VGPRBlocks: 2
; NumSGPRsForWavesPerEU: 13
; NumVGPRsForWavesPerEU: 20
; AccumOffset: 20
; Occupancy: 8
; WaveLimiterHint : 0
; COMPUTE_PGM_RSRC2:SCRATCH_EN: 0
; COMPUTE_PGM_RSRC2:USER_SGPR: 6
; COMPUTE_PGM_RSRC2:TRAP_HANDLER: 0
; COMPUTE_PGM_RSRC2:TGID_X_EN: 1
; COMPUTE_PGM_RSRC2:TGID_Y_EN: 1
; COMPUTE_PGM_RSRC2:TGID_Z_EN: 0
; COMPUTE_PGM_RSRC2:TIDIG_COMP_CNT: 1
; COMPUTE_PGM_RSRC3_GFX90A:ACCUM_OFFSET: 4
; COMPUTE_PGM_RSRC3_GFX90A:TG_SPLIT: 0
	.text
	.protected	_Z5grid2iPKdPd          ; -- Begin function _Z5grid2iPKdPd
	.globl	_Z5grid2iPKdPd
	.p2align	8
	.type	_Z5grid2iPKdPd,@function
_Z5grid2iPKdPd:                         ; @_Z5grid2iPKdPd
; %bb.0:
	s_load_dword s0, s[4:5], 0x24
	s_load_dword s8, s[4:5], 0x0
	v_and_b32_e32 v1, 0x3ff, v0
	v_bfe_u32 v0, v0, 10, 10
	s_waitcnt lgkmcnt(0)
	s_lshr_b32 s1, s0, 16
	s_and_b32 s0, s0, 0xffff
	s_mul_i32 s6, s6, s0
	s_mul_i32 s7, s7, s1
	v_add_u32_e32 v8, s6, v1
	v_add_u32_e32 v18, s7, v0
	s_add_i32 s0, s8, -2
	v_max_i32_e32 v0, v8, v18
	v_cmp_gt_i32_e32 vcc, s0, v0
	v_min_i32_e32 v0, v18, v8
	v_cmp_lt_i32_e64 s[0:1], 1, v0
	s_and_b64 s[0:1], s[0:1], vcc
	s_and_saveexec_b64 s[2:3], s[0:1]
	s_cbranch_execz .LBB6_2
; %bb.1:
	s_load_dwordx4 s[0:3], s[4:5], 0x8
	v_add_u32_e32 v0, -2, v8
	v_mul_lo_u32 v19, v0, s8
	v_ashrrev_i32_e32 v1, 31, v19
	v_ashrrev_i32_e32 v16, 31, v18
	v_add_co_u32_e32 v0, vcc, v19, v18
	v_addc_co_u32_e32 v1, vcc, v1, v16, vcc
	v_lshlrev_b64 v[0:1], 3, v[0:1]
	s_waitcnt lgkmcnt(0)
	v_mov_b32_e32 v2, s1
	v_add_co_u32_e32 v10, vcc, s0, v0
	v_addc_co_u32_e32 v11, vcc, v2, v1, vcc
	v_add_u32_e32 v26, s8, v19
	v_ashrrev_i32_e32 v1, 31, v26
	v_add_co_u32_e32 v0, vcc, v26, v18
	v_addc_co_u32_e32 v1, vcc, v1, v16, vcc
	v_lshlrev_b64 v[0:1], 3, v[0:1]
	v_add_co_u32_e32 v12, vcc, s0, v0
	v_addc_co_u32_e32 v13, vcc, v2, v1, vcc
	v_mul_lo_u32 v50, v8, s8
	v_ashrrev_i32_e32 v9, 31, v50
	v_add_co_u32_e32 v8, vcc, v18, v50
	v_addc_co_u32_e32 v9, vcc, v16, v9, vcc
	v_lshlrev_b64 v[8:9], 3, v[8:9]
	global_load_dwordx4 v[0:3], v[10:11], off offset:-16
	global_load_dwordx4 v[4:7], v[12:13], off offset:-16
	v_mov_b32_e32 v10, s1
	v_add_co_u32_e32 v12, vcc, s0, v8
	v_addc_co_u32_e32 v13, vcc, v10, v9, vcc
	v_add_u32_e32 v27, s8, v50
	v_ashrrev_i32_e32 v15, 31, v27
	v_add_co_u32_e32 v14, vcc, v27, v18
	v_addc_co_u32_e32 v15, vcc, v15, v16, vcc
	v_lshlrev_b64 v[14:15], 3, v[14:15]
	v_mov_b32_e32 v17, s1
	v_add_co_u32_e32 v20, vcc, s0, v14
	v_addc_co_u32_e32 v21, vcc, v17, v15, vcc
	v_add_u32_e32 v28, s8, v27
	v_ashrrev_i32_e32 v15, 31, v28
	v_add_co_u32_e32 v14, vcc, v28, v18
	v_addc_co_u32_e32 v15, vcc, v15, v16, vcc
	v_lshlrev_b64 v[14:15], 3, v[14:15]
	v_mov_b32_e32 v16, s1
	v_add_co_u32_e32 v22, vcc, s0, v14
	global_load_dwordx4 v[8:11], v[12:13], off offset:-16
	v_addc_co_u32_e32 v23, vcc, v16, v15, vcc
	global_load_dwordx2 v[16:17], v[20:21], off offset:-16
	global_load_dwordx2 v[14:15], v[22:23], off offset:-8
	v_add_u32_e32 v20, v19, v18
	v_ashrrev_i32_e32 v21, 31, v20
	v_lshlrev_b64 v[20:21], 3, v[20:21]
	v_mov_b32_e32 v19, s1
	v_add_co_u32_e32 v24, vcc, s0, v20
	v_add_u32_e32 v20, v26, v18
	v_addc_co_u32_e32 v25, vcc, v19, v21, vcc
	v_ashrrev_i32_e32 v21, 31, v20
	v_lshlrev_b64 v[20:21], 3, v[20:21]
	v_add_co_u32_e32 v36, vcc, s0, v20
	v_addc_co_u32_e32 v37, vcc, v19, v21, vcc
	global_load_dwordx4 v[20:23], v[24:25], off
	global_load_dwordx2 v[38:39], v[36:37], off
	v_add_u32_e32 v24, v27, v18
	v_ashrrev_i32_e32 v25, 31, v24
	v_lshlrev_b64 v[24:25], 3, v[24:25]
	v_add_co_u32_e32 v40, vcc, s0, v24
	v_add_u32_e32 v24, v28, v18
	v_addc_co_u32_e32 v41, vcc, v19, v25, vcc
	v_ashrrev_i32_e32 v25, 31, v24
	v_lshlrev_b64 v[24:25], 3, v[24:25]
	v_add_co_u32_e32 v42, vcc, s0, v24
	v_addc_co_u32_e32 v43, vcc, v19, v25, vcc
	global_load_dwordx2 v[44:45], v[42:43], off offset:16
	global_load_dwordx2 v[46:47], v[40:41], off offset:16
	global_load_dwordx4 v[24:27], v[42:43], off
	global_load_dwordx4 v[28:31], v[12:13], off offset:8
	global_load_dwordx4 v[32:35], v[40:41], off
	global_load_dwordx2 v[48:49], v[36:37], off offset:16
	v_add_u32_e32 v12, v50, v18
	v_ashrrev_i32_e32 v13, 31, v12
	v_lshlrev_b64 v[12:13], 3, v[12:13]
	v_mov_b32_e32 v18, s3
	v_add_co_u32_e32 v12, vcc, s2, v12
	v_addc_co_u32_e32 v13, vcc, v18, v13, vcc
	global_load_dwordx2 v[18:19], v[12:13], off
	s_mov_b32 s0, 0x55555555
	s_mov_b32 s1, 0xbf955555
	;; [unrolled: 1-line block ×4, first 2 shown]
	s_waitcnt vmcnt(12)
	v_mul_f64 v[4:5], v[4:5], s[0:1]
	v_fmac_f64_e32 v[4:5], 0xbfb00000, v[0:1]
	s_waitcnt vmcnt(11)
	v_fmac_f64_e32 v[4:5], s[0:1], v[8:9]
	s_waitcnt vmcnt(10)
	v_fmac_f64_e32 v[4:5], s[0:1], v[16:17]
	v_fmac_f64_e32 v[4:5], s[0:1], v[2:3]
	;; [unrolled: 1-line block ×4, first 2 shown]
	s_waitcnt vmcnt(9)
	v_fmac_f64_e32 v[4:5], s[2:3], v[14:15]
	s_waitcnt vmcnt(8)
	v_fmac_f64_e32 v[4:5], s[0:1], v[20:21]
	;; [unrolled: 2-line block ×4, first 2 shown]
	v_fmac_f64_e32 v[4:5], s[2:3], v[24:25]
	v_fmac_f64_e32 v[4:5], s[0:1], v[22:23]
	;; [unrolled: 1-line block ×5, first 2 shown]
	s_waitcnt vmcnt(1)
	v_fmac_f64_e32 v[4:5], s[2:3], v[48:49]
	v_fmac_f64_e32 v[4:5], s[2:3], v[30:31]
	;; [unrolled: 1-line block ×4, first 2 shown]
	s_waitcnt vmcnt(0)
	v_add_f64 v[0:1], v[18:19], v[4:5]
	global_store_dwordx2 v[12:13], v[0:1], off
.LBB6_2:
	s_endpgm
	.section	.rodata,"a",@progbits
	.p2align	6, 0x0
	.amdhsa_kernel _Z5grid2iPKdPd
		.amdhsa_group_segment_fixed_size 0
		.amdhsa_private_segment_fixed_size 0
		.amdhsa_kernarg_size 280
		.amdhsa_user_sgpr_count 6
		.amdhsa_user_sgpr_private_segment_buffer 1
		.amdhsa_user_sgpr_dispatch_ptr 0
		.amdhsa_user_sgpr_queue_ptr 0
		.amdhsa_user_sgpr_kernarg_segment_ptr 1
		.amdhsa_user_sgpr_dispatch_id 0
		.amdhsa_user_sgpr_flat_scratch_init 0
		.amdhsa_user_sgpr_kernarg_preload_length 0
		.amdhsa_user_sgpr_kernarg_preload_offset 0
		.amdhsa_user_sgpr_private_segment_size 0
		.amdhsa_uses_dynamic_stack 0
		.amdhsa_system_sgpr_private_segment_wavefront_offset 0
		.amdhsa_system_sgpr_workgroup_id_x 1
		.amdhsa_system_sgpr_workgroup_id_y 1
		.amdhsa_system_sgpr_workgroup_id_z 0
		.amdhsa_system_sgpr_workgroup_info 0
		.amdhsa_system_vgpr_workitem_id 1
		.amdhsa_next_free_vgpr 51
		.amdhsa_next_free_sgpr 9
		.amdhsa_accum_offset 52
		.amdhsa_reserve_vcc 1
		.amdhsa_reserve_flat_scratch 0
		.amdhsa_float_round_mode_32 0
		.amdhsa_float_round_mode_16_64 0
		.amdhsa_float_denorm_mode_32 3
		.amdhsa_float_denorm_mode_16_64 3
		.amdhsa_dx10_clamp 1
		.amdhsa_ieee_mode 1
		.amdhsa_fp16_overflow 0
		.amdhsa_tg_split 0
		.amdhsa_exception_fp_ieee_invalid_op 0
		.amdhsa_exception_fp_denorm_src 0
		.amdhsa_exception_fp_ieee_div_zero 0
		.amdhsa_exception_fp_ieee_overflow 0
		.amdhsa_exception_fp_ieee_underflow 0
		.amdhsa_exception_fp_ieee_inexact 0
		.amdhsa_exception_int_div_zero 0
	.end_amdhsa_kernel
	.text
.Lfunc_end6:
	.size	_Z5grid2iPKdPd, .Lfunc_end6-_Z5grid2iPKdPd
                                        ; -- End function
	.section	.AMDGPU.csdata,"",@progbits
; Kernel info:
; codeLenInByte = 744
; NumSgprs: 13
; NumVgprs: 51
; NumAgprs: 0
; TotalNumVgprs: 51
; ScratchSize: 0
; MemoryBound: 0
; FloatMode: 240
; IeeeMode: 1
; LDSByteSize: 0 bytes/workgroup (compile time only)
; SGPRBlocks: 1
; VGPRBlocks: 6
; NumSGPRsForWavesPerEU: 13
; NumVGPRsForWavesPerEU: 51
; AccumOffset: 52
; Occupancy: 8
; WaveLimiterHint : 0
; COMPUTE_PGM_RSRC2:SCRATCH_EN: 0
; COMPUTE_PGM_RSRC2:USER_SGPR: 6
; COMPUTE_PGM_RSRC2:TRAP_HANDLER: 0
; COMPUTE_PGM_RSRC2:TGID_X_EN: 1
; COMPUTE_PGM_RSRC2:TGID_Y_EN: 1
; COMPUTE_PGM_RSRC2:TGID_Z_EN: 0
; COMPUTE_PGM_RSRC2:TIDIG_COMP_CNT: 1
; COMPUTE_PGM_RSRC3_GFX90A:ACCUM_OFFSET: 12
; COMPUTE_PGM_RSRC3_GFX90A:TG_SPLIT: 0
	.text
	.protected	_Z5grid3iPKdPd          ; -- Begin function _Z5grid3iPKdPd
	.globl	_Z5grid3iPKdPd
	.p2align	8
	.type	_Z5grid3iPKdPd,@function
_Z5grid3iPKdPd:                         ; @_Z5grid3iPKdPd
; %bb.0:
	s_load_dword s0, s[4:5], 0x24
	s_load_dword s8, s[4:5], 0x0
	v_and_b32_e32 v1, 0x3ff, v0
	v_bfe_u32 v0, v0, 10, 10
	s_waitcnt lgkmcnt(0)
	s_lshr_b32 s1, s0, 16
	s_and_b32 s0, s0, 0xffff
	s_mul_i32 s6, s6, s0
	s_mul_i32 s7, s7, s1
	v_add_u32_e32 v14, s6, v1
	v_add_u32_e32 v48, s7, v0
	s_add_i32 s0, s8, -3
	v_max_i32_e32 v0, v14, v48
	v_cmp_gt_i32_e32 vcc, s0, v0
	v_min_i32_e32 v0, v48, v14
	v_cmp_lt_i32_e64 s[0:1], 2, v0
	s_and_b64 s[0:1], s[0:1], vcc
	s_and_saveexec_b64 s[2:3], s[0:1]
	s_cbranch_execz .LBB7_2
; %bb.1:
	s_load_dwordx4 s[0:3], s[4:5], 0x8
	v_add_u32_e32 v0, -3, v14
	v_mul_lo_u32 v42, v0, s8
	v_ashrrev_i32_e32 v1, 31, v42
	v_ashrrev_i32_e32 v43, 31, v48
	v_add_co_u32_e32 v0, vcc, v42, v48
	v_addc_co_u32_e32 v1, vcc, v1, v43, vcc
	v_lshlrev_b64 v[0:1], 3, v[0:1]
	s_waitcnt lgkmcnt(0)
	v_mov_b32_e32 v2, s1
	v_add_co_u32_e32 v0, vcc, s0, v0
	v_addc_co_u32_e32 v1, vcc, v2, v1, vcc
	v_add_u32_e32 v44, s8, v42
	v_ashrrev_i32_e32 v7, 31, v44
	v_add_co_u32_e32 v6, vcc, v44, v48
	v_addc_co_u32_e32 v7, vcc, v7, v43, vcc
	v_lshlrev_b64 v[6:7], 3, v[6:7]
	v_mov_b32_e32 v8, s1
	v_add_co_u32_e32 v22, vcc, s0, v6
	v_addc_co_u32_e32 v23, vcc, v8, v7, vcc
	global_load_dwordx4 v[2:5], v[0:1], off offset:-24
	global_load_dwordx4 v[6:9], v[22:23], off offset:-24
	v_add_u32_e32 v45, s8, v44
	v_ashrrev_i32_e32 v11, 31, v45
	v_add_co_u32_e32 v10, vcc, v45, v48
	v_addc_co_u32_e32 v11, vcc, v11, v43, vcc
	v_lshlrev_b64 v[10:11], 3, v[10:11]
	v_mov_b32_e32 v12, s1
	v_add_co_u32_e32 v26, vcc, s0, v10
	v_addc_co_u32_e32 v27, vcc, v12, v11, vcc
	v_mul_lo_u32 v49, v14, s8
	v_ashrrev_i32_e32 v15, 31, v49
	v_add_co_u32_e32 v14, vcc, v48, v49
	v_addc_co_u32_e32 v15, vcc, v43, v15, vcc
	v_lshlrev_b64 v[14:15], 3, v[14:15]
	v_mov_b32_e32 v16, s1
	v_add_co_u32_e32 v24, vcc, s0, v14
	v_addc_co_u32_e32 v25, vcc, v16, v15, vcc
	v_add_u32_e32 v46, s8, v49
	v_ashrrev_i32_e32 v19, 31, v46
	v_add_co_u32_e32 v18, vcc, v46, v48
	v_addc_co_u32_e32 v19, vcc, v19, v43, vcc
	global_load_dwordx4 v[10:13], v[26:27], off offset:-24
	global_load_dwordx4 v[14:17], v[24:25], off offset:-24
	v_lshlrev_b64 v[18:19], 3, v[18:19]
	v_mov_b32_e32 v20, s1
	v_add_co_u32_e32 v36, vcc, s0, v18
	v_addc_co_u32_e32 v37, vcc, v20, v19, vcc
	v_add_u32_e32 v47, s8, v46
	v_ashrrev_i32_e32 v19, 31, v47
	v_add_co_u32_e32 v18, vcc, v47, v48
	v_addc_co_u32_e32 v19, vcc, v19, v43, vcc
	v_lshlrev_b64 v[18:19], 3, v[18:19]
	v_add_co_u32_e32 v38, vcc, s0, v18
	v_addc_co_u32_e32 v39, vcc, v20, v19, vcc
	global_load_dwordx4 v[18:21], v[36:37], off offset:-24
	global_load_dwordx2 v[40:41], v[38:39], off offset:-24
	global_load_dwordx2 v[34:35], v[0:1], off offset:-8
	;; [unrolled: 1-line block ×5, first 2 shown]
	v_add_u32_e32 v50, s8, v47
	s_mov_b32 s6, 0x16c16c17
	v_ashrrev_i32_e32 v1, 31, v50
	v_add_co_u32_e32 v0, vcc, v50, v48
	s_mov_b32 s7, 0xbf76c16c
	v_addc_co_u32_e32 v1, vcc, v1, v43, vcc
	s_mov_b32 s5, 0xbf9c71c7
	s_mov_b32 s4, 0x1c71c71c
	v_lshlrev_b64 v[0:1], 3, v[0:1]
	v_add_co_u32_e32 v0, vcc, s0, v0
	s_mov_b32 s9, 0xbfa55555
	s_mov_b32 s8, 0x55555555
	v_add_u32_e32 v50, v50, v48
	global_load_dwordx2 v[36:37], v[38:39], off offset:-8
	v_mov_b32_e32 v22, s1
	v_ashrrev_i32_e32 v51, 31, v50
	v_lshlrev_b64 v[50:51], 3, v[50:51]
	v_mov_b32_e32 v52, s1
	v_mov_b32_e32 v54, s3
	s_mov_b32 s3, 0x3f8c71c7
	s_waitcnt vmcnt(9)
	v_mul_f64 v[26:27], v[6:7], s[6:7]
	v_fmac_f64_e32 v[26:27], s[4:5], v[2:3]
	v_mov_b32_e32 v2, s1
	v_addc_co_u32_e32 v1, vcc, v2, v1, vcc
	global_load_dwordx4 v[0:3], v[0:1], off offset:-16
	v_mov_b32_e32 v6, s1
	s_mov_b32 s5, 0xbf8c71c7
	s_waitcnt vmcnt(9)
	v_fmac_f64_e32 v[26:27], s[6:7], v[10:11]
	s_waitcnt vmcnt(8)
	v_fmac_f64_e32 v[26:27], s[6:7], v[14:15]
	v_mov_b32_e32 v10, s1
	v_mov_b32_e32 v14, s1
	s_mov_b32 s1, 0x3f76c16c
	s_waitcnt vmcnt(7)
	v_fmac_f64_e32 v[26:27], s[6:7], v[18:19]
	s_waitcnt vmcnt(6)
	v_fmac_f64_e32 v[26:27], s[6:7], v[40:41]
	v_fmac_f64_e32 v[26:27], s[6:7], v[4:5]
	v_add_u32_e32 v4, v42, v48
	v_ashrrev_i32_e32 v5, 31, v4
	v_lshlrev_b64 v[4:5], 3, v[4:5]
	v_fmac_f64_e32 v[26:27], s[8:9], v[8:9]
	v_add_co_u32_e32 v8, vcc, s0, v4
	v_addc_co_u32_e32 v9, vcc, v6, v5, vcc
	global_load_dwordx2 v[38:39], v[8:9], off offset:16
	global_load_dwordx4 v[4:7], v[8:9], off
	v_add_u32_e32 v8, v44, v48
	v_ashrrev_i32_e32 v9, 31, v8
	v_fmac_f64_e32 v[26:27], s[4:5], v[12:13]
	v_lshlrev_b64 v[8:9], 3, v[8:9]
	v_add_u32_e32 v12, v45, v48
	v_add_co_u32_e32 v40, vcc, s0, v8
	v_ashrrev_i32_e32 v13, 31, v12
	v_addc_co_u32_e32 v41, vcc, v10, v9, vcc
	v_lshlrev_b64 v[12:13], 3, v[12:13]
	v_add_co_u32_e32 v44, vcc, s0, v12
	v_add_u32_e32 v12, v46, v48
	v_addc_co_u32_e32 v45, vcc, v14, v13, vcc
	v_ashrrev_i32_e32 v13, 31, v12
	v_fmac_f64_e32 v[26:27], s[4:5], v[16:17]
	v_lshlrev_b64 v[12:13], 3, v[12:13]
	v_fmac_f64_e32 v[26:27], s[4:5], v[20:21]
	v_add_co_u32_e32 v20, vcc, s0, v12
	v_addc_co_u32_e32 v21, vcc, v14, v13, vcc
	global_load_dwordx4 v[8:11], v[40:41], off
	global_load_dwordx2 v[42:43], v[44:45], off
	global_load_dwordx4 v[12:15], v[20:21], off offset:16
	global_load_dwordx4 v[16:19], v[20:21], off
	v_add_u32_e32 v20, v47, v48
	v_ashrrev_i32_e32 v21, 31, v20
	v_lshlrev_b64 v[20:21], 3, v[20:21]
	v_add_co_u32_e32 v46, vcc, s0, v20
	v_addc_co_u32_e32 v47, vcc, v22, v21, vcc
	v_add_co_u32_e32 v62, vcc, s0, v50
	global_load_dwordx4 v[20:23], v[46:47], off
	v_addc_co_u32_e32 v63, vcc, v52, v51, vcc
	v_add_u32_e32 v48, v49, v48
	global_load_dwordx4 v[50:53], v[62:63], off
	v_ashrrev_i32_e32 v49, 31, v48
	v_lshlrev_b64 v[48:49], 3, v[48:49]
	v_add_co_u32_e32 v48, vcc, s2, v48
	v_addc_co_u32_e32 v49, vcc, v54, v49, vcc
	global_load_dwordx4 v[54:57], v[24:25], off offset:8
	global_load_dwordx4 v[58:61], v[44:45], off offset:16
	s_mov_b32 s0, s6
	s_waitcnt vmcnt(10)
	v_fmac_f64_e32 v[26:27], s[0:1], v[0:1]
	v_fmac_f64_e32 v[26:27], s[6:7], v[34:35]
	;; [unrolled: 1-line block ×3, first 2 shown]
	global_load_dwordx4 v[32:35], v[46:47], off offset:16
	s_mov_b32 s9, 0xbfb55555
	v_fmac_f64_e32 v[26:27], s[8:9], v[30:31]
	global_load_dwordx4 v[44:47], v[62:63], off offset:16
	global_load_dwordx2 v[0:1], v[40:41], off offset:24
	global_load_dwordx2 v[30:31], v[24:25], off offset:24
	v_fmac_f64_e32 v[26:27], s[8:9], v[28:29]
	global_load_dwordx2 v[24:25], v[48:49], off
	s_mov_b32 s2, s4
	v_fmac_f64_e32 v[26:27], s[2:3], v[36:37]
	v_fmac_f64_e32 v[26:27], s[0:1], v[2:3]
	s_waitcnt vmcnt(13)
	v_fmac_f64_e32 v[26:27], s[6:7], v[4:5]
	s_waitcnt vmcnt(12)
	;; [unrolled: 2-line block ×3, first 2 shown]
	v_fmac_f64_e32 v[26:27], s[8:9], v[42:43]
	s_mov_b32 s9, 0x3fb55555
	s_waitcnt vmcnt(9)
	v_fmac_f64_e32 v[26:27], s[8:9], v[16:17]
	s_waitcnt vmcnt(8)
	v_fmac_f64_e32 v[26:27], s[2:3], v[20:21]
	s_waitcnt vmcnt(7)
	v_fmac_f64_e32 v[26:27], s[0:1], v[50:51]
	v_fmac_f64_e32 v[26:27], s[6:7], v[6:7]
	v_fmac_f64_e32 v[26:27], s[4:5], v[10:11]
	s_mov_b32 s5, 0x3f9c71c7
	s_waitcnt vmcnt(6)
	v_fmac_f64_e32 v[26:27], s[8:9], v[54:55]
	v_fmac_f64_e32 v[26:27], s[8:9], v[18:19]
	;; [unrolled: 1-line block ×5, first 2 shown]
	s_waitcnt vmcnt(5)
	v_fmac_f64_e32 v[26:27], s[2:3], v[58:59]
	v_fmac_f64_e32 v[26:27], s[2:3], v[56:57]
	;; [unrolled: 1-line block ×3, first 2 shown]
	s_mov_b32 s9, 0x3fa55555
	s_waitcnt vmcnt(4)
	v_fmac_f64_e32 v[26:27], s[8:9], v[32:33]
	s_waitcnt vmcnt(3)
	v_fmac_f64_e32 v[26:27], s[0:1], v[44:45]
	;; [unrolled: 2-line block ×3, first 2 shown]
	v_fmac_f64_e32 v[26:27], s[0:1], v[60:61]
	s_waitcnt vmcnt(1)
	v_fmac_f64_e32 v[26:27], s[0:1], v[30:31]
	v_fmac_f64_e32 v[26:27], s[0:1], v[14:15]
	;; [unrolled: 1-line block ×4, first 2 shown]
	s_waitcnt vmcnt(0)
	v_add_f64 v[0:1], v[24:25], v[26:27]
	global_store_dwordx2 v[48:49], v[0:1], off
.LBB7_2:
	s_endpgm
	.section	.rodata,"a",@progbits
	.p2align	6, 0x0
	.amdhsa_kernel _Z5grid3iPKdPd
		.amdhsa_group_segment_fixed_size 0
		.amdhsa_private_segment_fixed_size 0
		.amdhsa_kernarg_size 280
		.amdhsa_user_sgpr_count 6
		.amdhsa_user_sgpr_private_segment_buffer 1
		.amdhsa_user_sgpr_dispatch_ptr 0
		.amdhsa_user_sgpr_queue_ptr 0
		.amdhsa_user_sgpr_kernarg_segment_ptr 1
		.amdhsa_user_sgpr_dispatch_id 0
		.amdhsa_user_sgpr_flat_scratch_init 0
		.amdhsa_user_sgpr_kernarg_preload_length 0
		.amdhsa_user_sgpr_kernarg_preload_offset 0
		.amdhsa_user_sgpr_private_segment_size 0
		.amdhsa_uses_dynamic_stack 0
		.amdhsa_system_sgpr_private_segment_wavefront_offset 0
		.amdhsa_system_sgpr_workgroup_id_x 1
		.amdhsa_system_sgpr_workgroup_id_y 1
		.amdhsa_system_sgpr_workgroup_id_z 0
		.amdhsa_system_sgpr_workgroup_info 0
		.amdhsa_system_vgpr_workitem_id 1
		.amdhsa_next_free_vgpr 64
		.amdhsa_next_free_sgpr 10
		.amdhsa_accum_offset 64
		.amdhsa_reserve_vcc 1
		.amdhsa_reserve_flat_scratch 0
		.amdhsa_float_round_mode_32 0
		.amdhsa_float_round_mode_16_64 0
		.amdhsa_float_denorm_mode_32 3
		.amdhsa_float_denorm_mode_16_64 3
		.amdhsa_dx10_clamp 1
		.amdhsa_ieee_mode 1
		.amdhsa_fp16_overflow 0
		.amdhsa_tg_split 0
		.amdhsa_exception_fp_ieee_invalid_op 0
		.amdhsa_exception_fp_denorm_src 0
		.amdhsa_exception_fp_ieee_div_zero 0
		.amdhsa_exception_fp_ieee_overflow 0
		.amdhsa_exception_fp_ieee_underflow 0
		.amdhsa_exception_fp_ieee_inexact 0
		.amdhsa_exception_int_div_zero 0
	.end_amdhsa_kernel
	.text
.Lfunc_end7:
	.size	_Z5grid3iPKdPd, .Lfunc_end7-_Z5grid3iPKdPd
                                        ; -- End function
	.section	.AMDGPU.csdata,"",@progbits
; Kernel info:
; codeLenInByte = 1164
; NumSgprs: 14
; NumVgprs: 64
; NumAgprs: 0
; TotalNumVgprs: 64
; ScratchSize: 0
; MemoryBound: 0
; FloatMode: 240
; IeeeMode: 1
; LDSByteSize: 0 bytes/workgroup (compile time only)
; SGPRBlocks: 1
; VGPRBlocks: 7
; NumSGPRsForWavesPerEU: 14
; NumVGPRsForWavesPerEU: 64
; AccumOffset: 64
; Occupancy: 8
; WaveLimiterHint : 0
; COMPUTE_PGM_RSRC2:SCRATCH_EN: 0
; COMPUTE_PGM_RSRC2:USER_SGPR: 6
; COMPUTE_PGM_RSRC2:TRAP_HANDLER: 0
; COMPUTE_PGM_RSRC2:TGID_X_EN: 1
; COMPUTE_PGM_RSRC2:TGID_Y_EN: 1
; COMPUTE_PGM_RSRC2:TGID_Z_EN: 0
; COMPUTE_PGM_RSRC2:TIDIG_COMP_CNT: 1
; COMPUTE_PGM_RSRC3_GFX90A:ACCUM_OFFSET: 15
; COMPUTE_PGM_RSRC3_GFX90A:TG_SPLIT: 0
	.text
	.protected	_Z5grid4iPKdPd          ; -- Begin function _Z5grid4iPKdPd
	.globl	_Z5grid4iPKdPd
	.p2align	8
	.type	_Z5grid4iPKdPd,@function
_Z5grid4iPKdPd:                         ; @_Z5grid4iPKdPd
; %bb.0:
	s_load_dword s0, s[4:5], 0x24
	s_load_dword s8, s[4:5], 0x0
	v_and_b32_e32 v1, 0x3ff, v0
	v_bfe_u32 v0, v0, 10, 10
	s_waitcnt lgkmcnt(0)
	s_lshr_b32 s1, s0, 16
	s_and_b32 s0, s0, 0xffff
	s_mul_i32 s6, s6, s0
	s_mul_i32 s7, s7, s1
	v_add_u32_e32 v8, s6, v1
	v_add_u32_e32 v58, s7, v0
	s_add_i32 s0, s8, -4
	v_max_i32_e32 v0, v8, v58
	v_cmp_gt_i32_e32 vcc, s0, v0
	v_min_i32_e32 v0, v58, v8
	v_cmp_lt_i32_e64 s[0:1], 3, v0
	s_and_b64 s[0:1], s[0:1], vcc
	s_and_saveexec_b64 s[2:3], s[0:1]
	s_cbranch_execz .LBB8_2
; %bb.1:
	s_load_dwordx4 s[0:3], s[4:5], 0x8
	v_add_u32_e32 v0, -4, v8
	v_mul_lo_u32 v48, v0, s8
	v_ashrrev_i32_e32 v1, 31, v48
	v_ashrrev_i32_e32 v44, 31, v58
	v_add_co_u32_e32 v0, vcc, v48, v58
	v_addc_co_u32_e32 v1, vcc, v1, v44, vcc
	v_lshlrev_b64 v[0:1], 3, v[0:1]
	s_waitcnt lgkmcnt(0)
	v_mov_b32_e32 v2, s1
	v_add_co_u32_e32 v30, vcc, s0, v0
	v_addc_co_u32_e32 v31, vcc, v2, v1, vcc
	v_add_u32_e32 v49, s8, v48
	v_ashrrev_i32_e32 v5, 31, v49
	v_add_co_u32_e32 v4, vcc, v49, v58
	v_addc_co_u32_e32 v5, vcc, v5, v44, vcc
	v_lshlrev_b64 v[4:5], 3, v[4:5]
	v_mov_b32_e32 v6, s1
	v_add_co_u32_e32 v36, vcc, s0, v4
	v_addc_co_u32_e32 v37, vcc, v6, v5, vcc
	v_add_u32_e32 v50, s8, v49
	v_ashrrev_i32_e32 v9, 31, v50
	v_add_co_u32_e32 v10, vcc, v50, v58
	v_addc_co_u32_e32 v11, vcc, v9, v44, vcc
	v_lshlrev_b64 v[10:11], 3, v[10:11]
	;; [unrolled: 8-line block ×3, first 2 shown]
	v_mov_b32_e32 v9, s1
	v_add_co_u32_e32 v40, vcc, s0, v14
	v_addc_co_u32_e32 v41, vcc, v9, v15, vcc
	v_mul_lo_u32 v59, v8, s8
	v_ashrrev_i32_e32 v9, 31, v59
	v_add_co_u32_e32 v8, vcc, v58, v59
	v_addc_co_u32_e32 v9, vcc, v44, v9, vcc
	v_lshlrev_b64 v[8:9], 3, v[8:9]
	v_mov_b32_e32 v18, s1
	v_add_co_u32_e32 v32, vcc, s0, v8
	v_addc_co_u32_e32 v33, vcc, v18, v9, vcc
	v_add_u32_e32 v56, s8, v59
	v_ashrrev_i32_e32 v9, 31, v56
	v_add_co_u32_e32 v8, vcc, v56, v58
	v_addc_co_u32_e32 v9, vcc, v9, v44, vcc
	v_lshlrev_b64 v[8:9], 3, v[8:9]
	v_mov_b32_e32 v22, s1
	v_add_co_u32_e32 v42, vcc, s0, v8
	v_addc_co_u32_e32 v43, vcc, v22, v9, vcc
	v_add_u32_e32 v55, s8, v56
	v_ashrrev_i32_e32 v9, 31, v55
	v_add_co_u32_e32 v8, vcc, v55, v58
	v_addc_co_u32_e32 v9, vcc, v9, v44, vcc
	v_lshlrev_b64 v[8:9], 3, v[8:9]
	global_load_dwordx4 v[4:7], v[36:37], off offset:-32
	global_load_dwordx4 v[10:13], v[38:39], off offset:-32
	v_mov_b32_e32 v26, s1
	v_add_co_u32_e32 v8, vcc, s0, v8
	global_load_dwordx4 v[0:3], v[30:31], off offset:-32
	global_load_dwordx4 v[18:21], v[32:33], off offset:-32
	v_addc_co_u32_e32 v9, vcc, v26, v9, vcc
	v_add_u32_e32 v54, s8, v55
	v_ashrrev_i32_e32 v35, 31, v54
	v_add_co_u32_e32 v34, vcc, v54, v58
	global_load_dwordx4 v[14:17], v[40:41], off offset:-32
	global_load_dwordx4 v[22:25], v[42:43], off offset:-32
	v_addc_co_u32_e32 v35, vcc, v35, v44, vcc
	v_lshlrev_b64 v[34:35], 3, v[34:35]
	v_mov_b32_e32 v45, s1
	v_add_co_u32_e32 v52, vcc, s0, v34
	global_load_dwordx4 v[26:29], v[8:9], off offset:-32
	global_load_dwordx2 v[46:47], v[8:9], off offset:-8
	v_addc_co_u32_e32 v53, vcc, v45, v35, vcc
	global_load_dwordx2 v[60:61], v[52:53], off offset:-32
	s_mov_b32 s4, 0x92492492
	s_mov_b32 s5, 0xbf624924
	v_add_u32_e32 v57, s8, v54
	s_mov_b32 s7, 0xbf955555
	s_mov_b32 s6, 0x55555555
	;; [unrolled: 1-line block ×8, first 2 shown]
	s_waitcnt vmcnt(8)
	v_mul_f64 v[34:35], v[4:5], s[4:5]
	v_ashrrev_i32_e32 v5, 31, v57
	v_add_co_u32_e32 v4, vcc, v57, v58
	v_addc_co_u32_e32 v5, vcc, v5, v44, vcc
	s_waitcnt vmcnt(6)
	v_fmac_f64_e32 v[34:35], 0xbf900000, v[0:1]
	v_fmac_f64_e32 v[34:35], s[4:5], v[10:11]
	v_lshlrev_b64 v[4:5], 3, v[4:5]
	global_load_dwordx4 v[8:11], v[52:53], off offset:-16
	s_waitcnt vmcnt(5)
	v_fmac_f64_e32 v[34:35], s[4:5], v[14:15]
	v_fmac_f64_e32 v[34:35], s[4:5], v[18:19]
	s_waitcnt vmcnt(4)
	v_fmac_f64_e32 v[34:35], s[4:5], v[22:23]
	v_add_co_u32_e32 v22, vcc, s0, v4
	s_waitcnt vmcnt(3)
	v_fmac_f64_e32 v[34:35], s[4:5], v[26:27]
	s_waitcnt vmcnt(1)
	v_fmac_f64_e32 v[34:35], s[4:5], v[60:61]
	v_fmac_f64_e32 v[34:35], s[4:5], v[2:3]
	global_load_dwordx4 v[0:3], v[36:37], off offset:-16
	v_fmac_f64_e32 v[34:35], s[6:7], v[6:7]
	v_mov_b32_e32 v6, s1
	v_addc_co_u32_e32 v23, vcc, v6, v5, vcc
	global_load_dwordx4 v[60:63], v[30:31], off offset:-16
	global_load_dwordx4 v[4:7], v[22:23], off offset:-24
	v_fmac_f64_e32 v[34:35], s[10:11], v[12:13]
	global_load_dwordx4 v[12:15], v[38:39], off offset:-16
	global_load_dwordx4 v[64:67], v[40:41], off offset:-16
	v_fmac_f64_e32 v[34:35], s[10:11], v[16:17]
	global_load_dwordx4 v[16:19], v[32:33], off offset:-16
	global_load_dwordx2 v[26:27], v[42:43], off offset:-16
	global_load_dwordx2 v[44:45], v[22:23], off offset:-8
	v_fmac_f64_e32 v[34:35], s[10:11], v[20:21]
	v_fmac_f64_e32 v[34:35], s[10:11], v[24:25]
	;; [unrolled: 1-line block ×3, first 2 shown]
	s_mov_b32 s7, 0xbf855555
	v_mov_b32_e32 v20, s1
	v_mov_b32_e32 v24, s1
	s_waitcnt vmcnt(5)
	v_fmac_f64_e32 v[34:35], s[8:9], v[4:5]
	v_fmac_f64_e32 v[34:35], s[4:5], v[60:61]
	;; [unrolled: 1-line block ×3, first 2 shown]
	s_waitcnt vmcnt(4)
	v_fmac_f64_e32 v[34:35], 0xbfa00000, v[12:13]
	s_waitcnt vmcnt(3)
	v_fmac_f64_e32 v[34:35], s[6:7], v[64:65]
	s_waitcnt vmcnt(2)
	v_fmac_f64_e32 v[34:35], s[6:7], v[16:17]
	s_waitcnt vmcnt(1)
	v_fmac_f64_e32 v[34:35], s[6:7], v[26:27]
	v_fmac_f64_e32 v[34:35], s[12:13], v[8:9]
	v_add_u32_e32 v0, v48, v58
	v_fmac_f64_e32 v[34:35], s[8:9], v[6:7]
	v_ashrrev_i32_e32 v1, 31, v0
	v_fmac_f64_e32 v[34:35], s[4:5], v[62:63]
	v_lshlrev_b64 v[0:1], 3, v[0:1]
	v_add_u32_e32 v4, v49, v58
	v_fmac_f64_e32 v[34:35], s[10:11], v[2:3]
	v_mov_b32_e32 v2, s1
	v_add_co_u32_e32 v36, vcc, s0, v0
	v_ashrrev_i32_e32 v5, 31, v4
	v_addc_co_u32_e32 v37, vcc, v2, v1, vcc
	v_lshlrev_b64 v[4:5], 3, v[4:5]
	v_add_u32_e32 v8, v50, v58
	v_mov_b32_e32 v6, s1
	v_add_co_u32_e32 v40, vcc, s0, v4
	v_ashrrev_i32_e32 v9, 31, v8
	v_addc_co_u32_e32 v41, vcc, v6, v5, vcc
	v_lshlrev_b64 v[8:9], 3, v[8:9]
	v_mov_b32_e32 v12, s1
	v_add_co_u32_e32 v48, vcc, s0, v8
	v_add_u32_e32 v8, v51, v58
	v_addc_co_u32_e32 v49, vcc, v12, v9, vcc
	v_ashrrev_i32_e32 v9, 31, v8
	v_lshlrev_b64 v[8:9], 3, v[8:9]
	v_mov_b32_e32 v16, s1
	v_add_co_u32_e32 v38, vcc, s0, v8
	v_add_u32_e32 v8, v56, v58
	v_addc_co_u32_e32 v39, vcc, v16, v9, vcc
	v_ashrrev_i32_e32 v9, 31, v8
	v_lshlrev_b64 v[8:9], 3, v[8:9]
	v_add_co_u32_e32 v42, vcc, s0, v8
	v_add_u32_e32 v8, v55, v58
	v_addc_co_u32_e32 v43, vcc, v16, v9, vcc
	v_ashrrev_i32_e32 v9, 31, v8
	v_lshlrev_b64 v[8:9], 3, v[8:9]
	v_add_co_u32_e32 v50, vcc, s0, v8
	v_add_u32_e32 v8, v54, v58
	global_load_dwordx4 v[0:3], v[36:37], off
	v_addc_co_u32_e32 v51, vcc, v20, v9, vcc
	v_ashrrev_i32_e32 v9, 31, v8
	global_load_dwordx4 v[4:7], v[40:41], off
	global_load_dwordx2 v[52:53], v[38:39], off
	v_lshlrev_b64 v[8:9], 3, v[8:9]
	v_fmac_f64_e32 v[34:35], s[6:7], v[14:15]
	global_load_dwordx4 v[12:15], v[48:49], off
	v_add_co_u32_e32 v54, vcc, s0, v8
	v_add_u32_e32 v8, v57, v58
	v_fmac_f64_e32 v[34:35], 0xbfb00000, v[66:67]
	v_addc_co_u32_e32 v55, vcc, v24, v9, vcc
	v_ashrrev_i32_e32 v9, 31, v8
	v_fmac_f64_e32 v[34:35], 0xbfb00000, v[18:19]
	global_load_dwordx4 v[16:19], v[42:43], off
	global_load_dwordx2 v[64:65], v[40:41], off offset:32
	v_lshlrev_b64 v[8:9], 3, v[8:9]
	global_load_dwordx4 v[20:23], v[50:51], off
	global_load_dwordx4 v[28:31], v[54:55], off
	v_add_co_u32_e32 v56, vcc, s0, v8
	v_addc_co_u32_e32 v57, vcc, v24, v9, vcc
	global_load_dwordx4 v[24:27], v[56:57], off
	s_mov_b32 s1, 0x3f855555
	s_mov_b32 s0, s6
	v_fmac_f64_e32 v[34:35], s[0:1], v[46:47]
	v_fmac_f64_e32 v[34:35], s[12:13], v[10:11]
	global_load_dwordx4 v[8:11], v[32:33], off offset:8
	s_waitcnt vmcnt(10)
	v_fmac_f64_e32 v[34:35], s[8:9], v[44:45]
	global_load_dwordx4 v[44:47], v[48:49], off offset:24
	global_load_dwordx4 v[60:63], v[36:37], off offset:16
	s_nop 0
	global_load_dwordx2 v[48:49], v[40:41], off offset:16
	s_waitcnt vmcnt(12)
	v_fmac_f64_e32 v[34:35], s[4:5], v[0:1]
	s_waitcnt vmcnt(11)
	v_fmac_f64_e32 v[34:35], s[10:11], v[4:5]
	;; [unrolled: 2-line block ×3, first 2 shown]
	v_fmac_f64_e32 v[34:35], 0xbfb00000, v[52:53]
	s_waitcnt vmcnt(8)
	v_fmac_f64_e32 v[34:35], 0x3fb00000, v[16:17]
	s_waitcnt vmcnt(6)
	;; [unrolled: 2-line block ×4, first 2 shown]
	v_fmac_f64_e32 v[34:35], s[8:9], v[24:25]
	v_fmac_f64_e32 v[34:35], s[4:5], v[2:3]
	;; [unrolled: 1-line block ×4, first 2 shown]
	global_load_dwordx4 v[0:3], v[42:43], off offset:16
	s_waitcnt vmcnt(4)
	v_fmac_f64_e32 v[34:35], 0x3fb00000, v[8:9]
	v_fmac_f64_e32 v[34:35], 0x3fb00000, v[18:19]
	;; [unrolled: 1-line block ×3, first 2 shown]
	global_load_dwordx4 v[20:23], v[38:39], off offset:16
	global_load_dwordx4 v[4:7], v[54:55], off offset:16
	;; [unrolled: 1-line block ×4, first 2 shown]
	v_add_u32_e32 v8, v59, v58
	v_ashrrev_i32_e32 v9, 31, v8
	v_lshlrev_b64 v[8:9], 3, v[8:9]
	v_mov_b32_e32 v24, s3
	v_add_co_u32_e32 v8, vcc, s2, v8
	v_fmac_f64_e32 v[34:35], s[12:13], v[30:31]
	v_addc_co_u32_e32 v9, vcc, v24, v9, vcc
	global_load_dwordx4 v[28:31], v[32:33], off offset:24
	global_load_dwordx2 v[24:25], v[38:39], off offset:32
	global_load_dwordx2 v[36:37], v[42:43], off offset:32
	;; [unrolled: 1-line block ×4, first 2 shown]
                                        ; kill: killed $vgpr32 killed $vgpr33
                                        ; kill: killed $vgpr54 killed $vgpr55
                                        ; kill: killed $vgpr50 killed $vgpr51
                                        ; kill: killed $vgpr38 killed $vgpr39
                                        ; kill: killed $vgpr42 killed $vgpr43
	s_nop 0
	global_load_dwordx2 v[32:33], v[56:57], off offset:32
	global_load_dwordx2 v[38:39], v[8:9], off
	v_fmac_f64_e32 v[34:35], s[8:9], v[26:27]
	s_waitcnt vmcnt(13)
	v_fmac_f64_e32 v[34:35], s[4:5], v[60:61]
	s_waitcnt vmcnt(12)
	v_fmac_f64_e32 v[34:35], s[10:11], v[48:49]
	s_mov_b32 s7, 0x3f955555
	s_waitcnt vmcnt(10)
	v_fmac_f64_e32 v[34:35], s[0:1], v[20:21]
	v_fmac_f64_e32 v[34:35], s[0:1], v[10:11]
	;; [unrolled: 1-line block ×3, first 2 shown]
	s_waitcnt vmcnt(8)
	v_fmac_f64_e32 v[34:35], 0x3fa00000, v[12:13]
	v_fmac_f64_e32 v[34:35], s[12:13], v[4:5]
	s_waitcnt vmcnt(7)
	v_fmac_f64_e32 v[34:35], s[8:9], v[16:17]
	v_fmac_f64_e32 v[34:35], s[4:5], v[62:63]
	;; [unrolled: 1-line block ×4, first 2 shown]
	s_waitcnt vmcnt(6)
	v_fmac_f64_e32 v[34:35], s[12:13], v[28:29]
	v_fmac_f64_e32 v[34:35], s[12:13], v[2:3]
	v_fmac_f64_e32 v[34:35], s[12:13], v[14:15]
	v_fmac_f64_e32 v[34:35], s[6:7], v[6:7]
	v_fmac_f64_e32 v[34:35], s[8:9], v[18:19]
	v_fmac_f64_e32 v[34:35], s[8:9], v[64:65]
	v_fmac_f64_e32 v[34:35], s[8:9], v[46:47]
	s_waitcnt vmcnt(5)
	v_fmac_f64_e32 v[34:35], s[8:9], v[24:25]
	v_fmac_f64_e32 v[34:35], s[8:9], v[30:31]
	s_waitcnt vmcnt(4)
	v_fmac_f64_e32 v[34:35], s[8:9], v[36:37]
	s_waitcnt vmcnt(3)
	;; [unrolled: 2-line block ×5, first 2 shown]
	v_add_f64 v[0:1], v[38:39], v[34:35]
	global_store_dwordx2 v[8:9], v[0:1], off
.LBB8_2:
	s_endpgm
	.section	.rodata,"a",@progbits
	.p2align	6, 0x0
	.amdhsa_kernel _Z5grid4iPKdPd
		.amdhsa_group_segment_fixed_size 0
		.amdhsa_private_segment_fixed_size 0
		.amdhsa_kernarg_size 280
		.amdhsa_user_sgpr_count 6
		.amdhsa_user_sgpr_private_segment_buffer 1
		.amdhsa_user_sgpr_dispatch_ptr 0
		.amdhsa_user_sgpr_queue_ptr 0
		.amdhsa_user_sgpr_kernarg_segment_ptr 1
		.amdhsa_user_sgpr_dispatch_id 0
		.amdhsa_user_sgpr_flat_scratch_init 0
		.amdhsa_user_sgpr_kernarg_preload_length 0
		.amdhsa_user_sgpr_kernarg_preload_offset 0
		.amdhsa_user_sgpr_private_segment_size 0
		.amdhsa_uses_dynamic_stack 0
		.amdhsa_system_sgpr_private_segment_wavefront_offset 0
		.amdhsa_system_sgpr_workgroup_id_x 1
		.amdhsa_system_sgpr_workgroup_id_y 1
		.amdhsa_system_sgpr_workgroup_id_z 0
		.amdhsa_system_sgpr_workgroup_info 0
		.amdhsa_system_vgpr_workitem_id 1
		.amdhsa_next_free_vgpr 68
		.amdhsa_next_free_sgpr 14
		.amdhsa_accum_offset 68
		.amdhsa_reserve_vcc 1
		.amdhsa_reserve_flat_scratch 0
		.amdhsa_float_round_mode_32 0
		.amdhsa_float_round_mode_16_64 0
		.amdhsa_float_denorm_mode_32 3
		.amdhsa_float_denorm_mode_16_64 3
		.amdhsa_dx10_clamp 1
		.amdhsa_ieee_mode 1
		.amdhsa_fp16_overflow 0
		.amdhsa_tg_split 0
		.amdhsa_exception_fp_ieee_invalid_op 0
		.amdhsa_exception_fp_denorm_src 0
		.amdhsa_exception_fp_ieee_div_zero 0
		.amdhsa_exception_fp_ieee_overflow 0
		.amdhsa_exception_fp_ieee_underflow 0
		.amdhsa_exception_fp_ieee_inexact 0
		.amdhsa_exception_int_div_zero 0
	.end_amdhsa_kernel
	.text
.Lfunc_end8:
	.size	_Z5grid4iPKdPd, .Lfunc_end8-_Z5grid4iPKdPd
                                        ; -- End function
	.section	.AMDGPU.csdata,"",@progbits
; Kernel info:
; codeLenInByte = 1628
; NumSgprs: 18
; NumVgprs: 68
; NumAgprs: 0
; TotalNumVgprs: 68
; ScratchSize: 0
; MemoryBound: 0
; FloatMode: 240
; IeeeMode: 1
; LDSByteSize: 0 bytes/workgroup (compile time only)
; SGPRBlocks: 2
; VGPRBlocks: 8
; NumSGPRsForWavesPerEU: 18
; NumVGPRsForWavesPerEU: 68
; AccumOffset: 68
; Occupancy: 7
; WaveLimiterHint : 0
; COMPUTE_PGM_RSRC2:SCRATCH_EN: 0
; COMPUTE_PGM_RSRC2:USER_SGPR: 6
; COMPUTE_PGM_RSRC2:TRAP_HANDLER: 0
; COMPUTE_PGM_RSRC2:TGID_X_EN: 1
; COMPUTE_PGM_RSRC2:TGID_Y_EN: 1
; COMPUTE_PGM_RSRC2:TGID_Z_EN: 0
; COMPUTE_PGM_RSRC2:TIDIG_COMP_CNT: 1
; COMPUTE_PGM_RSRC3_GFX90A:ACCUM_OFFSET: 16
; COMPUTE_PGM_RSRC3_GFX90A:TG_SPLIT: 0
	.text
	.protected	_Z5grid5iPKdPd          ; -- Begin function _Z5grid5iPKdPd
	.globl	_Z5grid5iPKdPd
	.p2align	8
	.type	_Z5grid5iPKdPd,@function
_Z5grid5iPKdPd:                         ; @_Z5grid5iPKdPd
; %bb.0:
	s_load_dword s0, s[4:5], 0x24
	s_load_dword s10, s[4:5], 0x0
	v_and_b32_e32 v1, 0x3ff, v0
	v_bfe_u32 v0, v0, 10, 10
	s_waitcnt lgkmcnt(0)
	s_lshr_b32 s1, s0, 16
	s_and_b32 s0, s0, 0xffff
	s_mul_i32 s6, s6, s0
	s_mul_i32 s7, s7, s1
	v_add_u32_e32 v20, s6, v1
	v_add_u32_e32 v48, s7, v0
	s_add_i32 s0, s10, -5
	v_max_i32_e32 v0, v20, v48
	v_cmp_gt_i32_e32 vcc, s0, v0
	v_min_i32_e32 v0, v48, v20
	v_cmp_lt_i32_e64 s[0:1], 4, v0
	s_and_b64 s[0:1], s[0:1], vcc
	s_and_saveexec_b64 s[2:3], s[0:1]
	s_cbranch_execz .LBB9_2
; %bb.1:
	s_load_dwordx4 s[0:3], s[4:5], 0x8
	v_add_u32_e32 v0, -5, v20
	v_mul_lo_u32 v50, v0, s10
	v_ashrrev_i32_e32 v1, 31, v50
	v_ashrrev_i32_e32 v53, 31, v48
	v_add_co_u32_e32 v0, vcc, v50, v48
	v_addc_co_u32_e32 v1, vcc, v1, v53, vcc
	v_lshlrev_b64 v[0:1], 3, v[0:1]
	s_waitcnt lgkmcnt(0)
	v_mov_b32_e32 v2, s1
	v_add_co_u32_e32 v28, vcc, s0, v0
	v_addc_co_u32_e32 v29, vcc, v2, v1, vcc
	v_add_u32_e32 v51, s10, v50
	v_ashrrev_i32_e32 v5, 31, v51
	v_add_co_u32_e32 v4, vcc, v51, v48
	v_addc_co_u32_e32 v5, vcc, v5, v53, vcc
	v_lshlrev_b64 v[4:5], 3, v[4:5]
	v_mov_b32_e32 v6, s1
	v_add_co_u32_e32 v30, vcc, s0, v4
	v_addc_co_u32_e32 v31, vcc, v6, v5, vcc
	global_load_dwordx4 v[4:7], v[30:31], off offset:-40
	global_load_dwordx4 v[0:3], v[28:29], off offset:-40
	v_add_u32_e32 v52, s10, v51
	v_ashrrev_i32_e32 v9, 31, v52
	v_add_co_u32_e32 v8, vcc, v52, v48
	v_addc_co_u32_e32 v9, vcc, v9, v53, vcc
	v_lshlrev_b64 v[8:9], 3, v[8:9]
	v_mov_b32_e32 v10, s1
	v_add_co_u32_e32 v32, vcc, s0, v8
	v_addc_co_u32_e32 v33, vcc, v10, v9, vcc
	v_add_u32_e32 v55, s10, v52
	v_ashrrev_i32_e32 v13, 31, v55
	v_add_co_u32_e32 v12, vcc, v55, v48
	v_addc_co_u32_e32 v13, vcc, v13, v53, vcc
	v_lshlrev_b64 v[12:13], 3, v[12:13]
	v_mov_b32_e32 v14, s1
	v_add_co_u32_e32 v34, vcc, s0, v12
	v_addc_co_u32_e32 v35, vcc, v14, v13, vcc
	v_add_u32_e32 v57, s10, v55
	v_ashrrev_i32_e32 v17, 31, v57
	v_add_co_u32_e32 v16, vcc, v57, v48
	v_addc_co_u32_e32 v17, vcc, v17, v53, vcc
	v_lshlrev_b64 v[16:17], 3, v[16:17]
	v_mov_b32_e32 v18, s1
	v_add_co_u32_e32 v36, vcc, s0, v16
	v_addc_co_u32_e32 v37, vcc, v18, v17, vcc
	v_mul_lo_u32 v49, v20, s10
	v_ashrrev_i32_e32 v21, 31, v49
	v_add_co_u32_e32 v20, vcc, v48, v49
	v_addc_co_u32_e32 v21, vcc, v53, v21, vcc
	v_lshlrev_b64 v[20:21], 3, v[20:21]
	v_mov_b32_e32 v22, s1
	v_add_co_u32_e32 v24, vcc, s0, v20
	v_addc_co_u32_e32 v25, vcc, v22, v21, vcc
	global_load_dwordx4 v[20:23], v[24:25], off offset:-40
	v_add_u32_e32 v58, s10, v49
	v_ashrrev_i32_e32 v27, 31, v58
	v_add_co_u32_e32 v26, vcc, v58, v48
	v_addc_co_u32_e32 v27, vcc, v27, v53, vcc
	v_lshlrev_b64 v[26:27], 3, v[26:27]
	v_mov_b32_e32 v39, s1
	v_add_co_u32_e32 v38, vcc, s0, v26
	v_addc_co_u32_e32 v39, vcc, v39, v27, vcc
	v_add_u32_e32 v59, s10, v58
	v_ashrrev_i32_e32 v27, 31, v59
	v_add_co_u32_e32 v26, vcc, v59, v48
	v_addc_co_u32_e32 v27, vcc, v27, v53, vcc
	v_lshlrev_b64 v[26:27], 3, v[26:27]
	v_mov_b32_e32 v41, s1
	v_add_co_u32_e32 v40, vcc, s0, v26
	v_addc_co_u32_e32 v41, vcc, v41, v27, vcc
	v_add_u32_e32 v54, s10, v59
	v_ashrrev_i32_e32 v27, 31, v54
	v_add_co_u32_e32 v26, vcc, v54, v48
	v_addc_co_u32_e32 v27, vcc, v27, v53, vcc
	global_load_dwordx4 v[8:11], v[32:33], off offset:-40
	v_lshlrev_b64 v[26:27], 3, v[26:27]
	global_load_dwordx4 v[12:15], v[34:35], off offset:-40
	global_load_dwordx4 v[16:19], v[36:37], off offset:-40
	v_mov_b32_e32 v42, s1
	v_add_co_u32_e32 v44, vcc, s0, v26
	v_addc_co_u32_e32 v45, vcc, v42, v27, vcc
	v_add_u32_e32 v56, s10, v54
	v_ashrrev_i32_e32 v27, 31, v56
	v_add_co_u32_e32 v26, vcc, v56, v48
	v_addc_co_u32_e32 v27, vcc, v27, v53, vcc
	global_load_dwordx2 v[46:47], v[24:25], off offset:40
	global_load_dwordx4 v[60:63], v[38:39], off offset:-40
	s_mov_b32 s4, 0x789abcdf
	v_lshlrev_b64 v[26:27], 3, v[26:27]
	global_load_dwordx4 v[64:67], v[40:41], off offset:-40
	s_mov_b32 s5, 0xbf523456
	v_mov_b32_e32 v43, s1
	v_add_co_u32_e32 v42, vcc, s0, v26
	v_addc_co_u32_e32 v43, vcc, v43, v27, vcc
	s_waitcnt vmcnt(8)
	v_mul_f64 v[26:27], v[4:5], s[4:5]
	s_mov_b32 s7, 0xbf847ae1
	s_mov_b32 s6, 0x47ae147b
	global_load_dwordx4 v[68:71], v[44:45], off offset:-40
	global_load_dwordx4 v[72:75], v[44:45], off offset:-16
	s_waitcnt vmcnt(9)
	v_fmac_f64_e32 v[26:27], s[6:7], v[0:1]
	global_load_dwordx2 v[0:1], v[42:43], off offset:-40
	global_load_dwordx4 v[76:79], v[42:43], off offset:-24
	v_add_u32_e32 v44, s10, v56
	v_ashrrev_i32_e32 v5, 31, v44
	v_add_co_u32_e32 v4, vcc, v44, v48
	v_addc_co_u32_e32 v5, vcc, v5, v53, vcc
	s_mov_b32 s9, 0xbf899999
	s_mov_b32 s8, 0x9999999a
	v_lshlrev_b64 v[4:5], 3, v[4:5]
	v_add_co_u32_e32 v80, vcc, s0, v4
	s_mov_b32 s14, 0x1d41d41d
	s_mov_b32 s15, 0xbf5d41d4
	;; [unrolled: 1-line block ×4, first 2 shown]
	global_load_dwordx2 v[82:83], v[42:43], off offset:-8
	s_mov_b32 s17, 0xbf911111
	s_mov_b32 s16, 0x11111111
	s_mov_b32 s18, 0xb4e81b4f
	s_mov_b32 s19, 0xbf6b4e81
	s_mov_b32 s13, 0x3f5d41d4
	s_mov_b32 s12, s14
	s_mov_b32 s21, 0x3f6b4e81
	s_mov_b32 s20, s18
	s_mov_b32 s23, 0x3f811111
	s_mov_b32 s22, s16
	s_mov_b32 s7, 0x3f847ae1
	s_waitcnt vmcnt(10)
	v_fmac_f64_e32 v[26:27], s[4:5], v[8:9]
	s_waitcnt vmcnt(9)
	v_fmac_f64_e32 v[26:27], s[4:5], v[12:13]
	;; [unrolled: 2-line block ×3, first 2 shown]
	v_fmac_f64_e32 v[26:27], s[4:5], v[20:21]
	s_waitcnt vmcnt(6)
	v_fmac_f64_e32 v[26:27], s[4:5], v[60:61]
	s_waitcnt vmcnt(5)
	;; [unrolled: 2-line block ×4, first 2 shown]
	v_fmac_f64_e32 v[26:27], s[4:5], v[0:1]
	v_fmac_f64_e32 v[26:27], s[4:5], v[2:3]
	;; [unrolled: 1-line block ×3, first 2 shown]
	v_mov_b32_e32 v6, s1
	v_addc_co_u32_e32 v81, vcc, v6, v5, vcc
	global_load_dwordx4 v[4:7], v[80:81], off offset:-32
	global_load_dwordx4 v[0:3], v[28:29], off offset:-24
	v_fmac_f64_e32 v[26:27], s[14:15], v[10:11]
	v_fmac_f64_e32 v[26:27], s[14:15], v[14:15]
	global_load_dwordx4 v[8:11], v[30:31], off offset:-24
	global_load_dwordx4 v[12:15], v[32:33], off offset:-24
	v_fmac_f64_e32 v[26:27], s[14:15], v[18:19]
	v_fmac_f64_e32 v[26:27], s[14:15], v[22:23]
	;; [unrolled: 4-line block ×3, first 2 shown]
	global_load_dwordx4 v[60:63], v[24:25], off offset:-24
	v_fmac_f64_e32 v[26:27], s[14:15], v[70:71]
	global_load_dwordx4 v[64:67], v[38:39], off offset:-24
	s_mov_b32 s9, 0xbf999999
	s_waitcnt vmcnt(7)
	v_fmac_f64_e32 v[26:27], s[10:11], v[4:5]
	s_waitcnt vmcnt(6)
	v_fmac_f64_e32 v[26:27], s[4:5], v[0:1]
	global_load_dwordx2 v[0:1], v[40:41], off offset:-24
	global_load_dwordx2 v[4:5], v[40:41], off offset:-8
	s_waitcnt vmcnt(7)
	v_fmac_f64_e32 v[26:27], s[14:15], v[8:9]
	s_waitcnt vmcnt(6)
	v_fmac_f64_e32 v[26:27], s[16:17], v[12:13]
	s_mov_b32 s17, 0xbf811111
	s_waitcnt vmcnt(5)
	v_fmac_f64_e32 v[26:27], s[18:19], v[16:17]
	s_waitcnt vmcnt(4)
	v_fmac_f64_e32 v[26:27], s[18:19], v[20:21]
	v_add_u32_e32 v20, v59, v48
	v_ashrrev_i32_e32 v21, 31, v20
	s_waitcnt vmcnt(3)
	v_fmac_f64_e32 v[26:27], s[18:19], v[60:61]
	v_lshlrev_b64 v[20:21], 3, v[20:21]
	s_waitcnt vmcnt(2)
	v_fmac_f64_e32 v[26:27], s[18:19], v[64:65]
	s_waitcnt vmcnt(1)
	v_fmac_f64_e32 v[26:27], s[18:19], v[0:1]
	v_fmac_f64_e32 v[26:27], s[12:13], v[76:77]
	;; [unrolled: 1-line block ×6, first 2 shown]
	global_load_dwordx2 v[6:7], v[28:29], off offset:-8
	global_load_dwordx4 v[68:71], v[80:81], off offset:-16
	global_load_dwordx2 v[8:9], v[30:31], off offset:-8
	global_load_dwordx2 v[10:11], v[32:33], off offset:-8
	;; [unrolled: 1-line block ×5, first 2 shown]
	v_fmac_f64_e32 v[26:27], s[8:9], v[18:19]
	v_fmac_f64_e32 v[26:27], s[16:17], v[22:23]
	;; [unrolled: 1-line block ×6, first 2 shown]
	v_add_u32_e32 v0, v50, v48
	v_ashrrev_i32_e32 v1, 31, v0
	v_lshlrev_b64 v[0:1], 3, v[0:1]
	v_mov_b32_e32 v2, s1
	v_add_co_u32_e32 v28, vcc, s0, v0
	s_mov_b32 s9, 0xbfa99999
	v_addc_co_u32_e32 v29, vcc, v2, v1, vcc
	global_load_dwordx4 v[0:3], v[28:29], off
	v_mov_b32_e32 v18, s1
	v_mov_b32_e32 v22, s1
	s_waitcnt vmcnt(6)
	v_fmac_f64_e32 v[26:27], s[10:11], v[68:69]
	v_fmac_f64_e32 v[26:27], s[4:5], v[6:7]
	s_waitcnt vmcnt(5)
	v_fmac_f64_e32 v[26:27], s[14:15], v[8:9]
	s_waitcnt vmcnt(4)
	;; [unrolled: 2-line block ×5, first 2 shown]
	v_fmac_f64_e32 v[26:27], s[8:9], v[16:17]
	v_fmac_f64_e32 v[26:27], s[22:23], v[4:5]
	v_add_u32_e32 v4, v51, v48
	v_ashrrev_i32_e32 v5, 31, v4
	v_lshlrev_b64 v[4:5], 3, v[4:5]
	v_mov_b32_e32 v6, s1
	v_add_co_u32_e32 v38, vcc, s0, v4
	v_add_u32_e32 v8, v52, v48
	v_addc_co_u32_e32 v39, vcc, v6, v5, vcc
	v_ashrrev_i32_e32 v9, 31, v8
	global_load_dwordx4 v[4:7], v[38:39], off
	v_lshlrev_b64 v[8:9], 3, v[8:9]
	v_mov_b32_e32 v10, s1
	v_add_co_u32_e32 v36, vcc, s0, v8
	v_addc_co_u32_e32 v37, vcc, v10, v9, vcc
	v_add_u32_e32 v12, v55, v48
	global_load_dwordx4 v[8:11], v[36:37], off
	v_ashrrev_i32_e32 v13, 31, v12
	v_lshlrev_b64 v[12:13], 3, v[12:13]
	v_add_u32_e32 v16, v57, v48
	v_mov_b32_e32 v14, s1
	v_add_co_u32_e32 v40, vcc, s0, v12
	v_ashrrev_i32_e32 v17, 31, v16
	v_addc_co_u32_e32 v41, vcc, v14, v13, vcc
	v_lshlrev_b64 v[16:17], 3, v[16:17]
	v_add_co_u32_e32 v30, vcc, s0, v16
	global_load_dwordx4 v[12:15], v[40:41], off
	global_load_dwordx4 v[50:53], v[40:41], off offset:24
	v_addc_co_u32_e32 v31, vcc, v18, v17, vcc
	global_load_dwordx2 v[42:43], v[30:31], off
	v_fmac_f64_e32 v[26:27], s[20:21], v[74:75]
	v_add_u32_e32 v16, v58, v48
	v_ashrrev_i32_e32 v17, 31, v16
	v_fmac_f64_e32 v[26:27], s[12:13], v[82:83]
	v_lshlrev_b64 v[16:17], 3, v[16:17]
	v_fmac_f64_e32 v[26:27], s[10:11], v[70:71]
	v_add_co_u32_e32 v32, vcc, s0, v16
	s_waitcnt vmcnt(5)
	v_fmac_f64_e32 v[26:27], s[4:5], v[0:1]
	v_addc_co_u32_e32 v33, vcc, v18, v17, vcc
	global_load_dwordx4 v[16:19], v[32:33], off
	global_load_dwordx2 v[0:1], v[38:39], off offset:40
	v_add_co_u32_e32 v34, vcc, s0, v20
	v_addc_co_u32_e32 v35, vcc, v22, v21, vcc
	global_load_dwordx4 v[20:23], v[34:35], off
	global_load_dwordx2 v[68:69], v[40:41], off offset:40
	s_waitcnt vmcnt(8)
	v_fmac_f64_e32 v[26:27], s[14:15], v[4:5]
	v_add_u32_e32 v4, v54, v48
	v_ashrrev_i32_e32 v5, 31, v4
	v_lshlrev_b64 v[4:5], 3, v[4:5]
	v_add_co_u32_e32 v62, vcc, s0, v4
	v_add_u32_e32 v4, v56, v48
	s_waitcnt vmcnt(7)
	v_fmac_f64_e32 v[26:27], s[18:19], v[8:9]
	v_mov_b32_e32 v8, s1
	v_addc_co_u32_e32 v63, vcc, v8, v5, vcc
	v_ashrrev_i32_e32 v5, 31, v4
	v_lshlrev_b64 v[4:5], 3, v[4:5]
	v_add_co_u32_e32 v64, vcc, s0, v4
	v_add_u32_e32 v4, v44, v48
	v_addc_co_u32_e32 v65, vcc, v8, v5, vcc
	global_load_dwordx4 v[54:57], v[64:65], off
	v_ashrrev_i32_e32 v5, 31, v4
	v_lshlrev_b64 v[4:5], 3, v[4:5]
	s_waitcnt vmcnt(7)
	v_fmac_f64_e32 v[26:27], s[16:17], v[12:13]
	v_add_co_u32_e32 v66, vcc, s0, v4
	s_waitcnt vmcnt(5)
	v_fmac_f64_e32 v[26:27], s[8:9], v[42:43]
	global_load_dwordx4 v[40:43], v[62:63], off
	v_addc_co_u32_e32 v67, vcc, v8, v5, vcc
	global_load_dwordx4 v[58:61], v[66:67], off
	s_mov_b32 s9, 0x3fa99999
	s_waitcnt vmcnt(6)
	v_fmac_f64_e32 v[26:27], s[8:9], v[16:17]
	s_waitcnt vmcnt(4)
	v_fmac_f64_e32 v[26:27], s[22:23], v[20:21]
	;; [unrolled: 2-line block ×3, first 2 shown]
	v_fmac_f64_e32 v[26:27], s[12:13], v[54:55]
	s_waitcnt vmcnt(0)
	v_fmac_f64_e32 v[26:27], s[10:11], v[58:59]
	v_fmac_f64_e32 v[26:27], s[4:5], v[2:3]
	;; [unrolled: 1-line block ×3, first 2 shown]
	global_load_dwordx4 v[2:5], v[24:25], off offset:8
	global_load_dwordx4 v[6:9], v[38:39], off offset:16
	v_fmac_f64_e32 v[26:27], s[18:19], v[10:11]
	global_load_dwordx4 v[10:13], v[28:29], off offset:16
	v_fmac_f64_e32 v[26:27], s[16:17], v[14:15]
	global_load_dwordx4 v[14:17], v[30:31], off offset:16
	s_mov_b32 s17, 0x3f911111
	global_load_dwordx4 v[38:41], v[34:35], off offset:16
	s_waitcnt vmcnt(4)
	v_fmac_f64_e32 v[26:27], s[8:9], v[2:3]
	global_load_dwordx2 v[2:3], v[36:37], off offset:16
	v_fmac_f64_e32 v[26:27], s[8:9], v[18:19]
	global_load_dwordx4 v[18:21], v[32:33], off offset:16
	v_fmac_f64_e32 v[26:27], s[22:23], v[22:23]
	v_fmac_f64_e32 v[26:27], s[20:21], v[42:43]
	;; [unrolled: 1-line block ×4, first 2 shown]
	s_waitcnt vmcnt(4)
	v_fmac_f64_e32 v[26:27], s[4:5], v[10:11]
	v_fmac_f64_e32 v[26:27], s[14:15], v[6:7]
	global_load_dwordx4 v[42:45], v[36:37], off offset:32
	s_mov_b32 s9, 0x3f999999
	global_load_dwordx4 v[54:57], v[66:67], off offset:16
	s_waitcnt vmcnt(3)
	v_fmac_f64_e32 v[26:27], s[18:19], v[2:3]
	v_fmac_f64_e32 v[26:27], s[22:23], v[14:15]
	;; [unrolled: 1-line block ×3, first 2 shown]
	global_load_dwordx4 v[2:5], v[62:63], off offset:16
	s_waitcnt vmcnt(3)
	v_fmac_f64_e32 v[26:27], s[22:23], v[18:19]
	v_fmac_f64_e32 v[26:27], s[8:9], v[38:39]
	global_load_dwordx4 v[36:39], v[64:65], off offset:16
	s_mov_b32 s9, 0x3f899999
	s_waitcnt vmcnt(1)
	v_fmac_f64_e32 v[26:27], s[20:21], v[2:3]
	s_waitcnt vmcnt(0)
	v_fmac_f64_e32 v[26:27], s[12:13], v[36:37]
	v_fmac_f64_e32 v[26:27], s[10:11], v[54:55]
	;; [unrolled: 1-line block ×4, first 2 shown]
	global_load_dwordx4 v[6:9], v[24:25], off offset:24
	global_load_dwordx2 v[2:3], v[28:29], off offset:32
	v_fmac_f64_e32 v[26:27], s[20:21], v[50:51]
	v_fmac_f64_e32 v[26:27], s[20:21], v[16:17]
	global_load_dwordx4 v[10:13], v[32:33], off offset:32
	global_load_dwordx4 v[14:17], v[30:31], off offset:32
	s_waitcnt vmcnt(3)
	v_fmac_f64_e32 v[26:27], s[20:21], v[6:7]
	v_fmac_f64_e32 v[26:27], s[20:21], v[20:21]
	global_load_dwordx4 v[18:21], v[34:35], off offset:32
	global_load_dwordx4 v[22:25], v[62:63], off offset:32
	;; [unrolled: 1-line block ×3, first 2 shown]
	s_nop 0
	global_load_dwordx4 v[32:35], v[66:67], off offset:32
	v_fmac_f64_e32 v[26:27], s[20:21], v[40:41]
	v_fmac_f64_e32 v[26:27], s[16:17], v[4:5]
	v_add_u32_e32 v4, v49, v48
	v_ashrrev_i32_e32 v5, 31, v4
	v_lshlrev_b64 v[4:5], 3, v[4:5]
	v_mov_b32_e32 v6, s3
	v_add_co_u32_e32 v4, vcc, s2, v4
	v_addc_co_u32_e32 v5, vcc, v6, v5, vcc
	global_load_dwordx2 v[6:7], v[4:5], off
	v_fmac_f64_e32 v[26:27], s[12:13], v[38:39]
	v_fmac_f64_e32 v[26:27], s[10:11], v[56:57]
	s_waitcnt vmcnt(7)
	v_fmac_f64_e32 v[26:27], s[4:5], v[2:3]
	v_fmac_f64_e32 v[26:27], s[12:13], v[42:43]
	v_fmac_f64_e32 v[26:27], s[12:13], v[52:53]
	s_waitcnt vmcnt(5)
	v_fmac_f64_e32 v[26:27], s[12:13], v[14:15]
	;; [unrolled: 4-line block ×3, first 2 shown]
	s_waitcnt vmcnt(3)
	v_fmac_f64_e32 v[26:27], s[12:13], v[22:23]
	s_waitcnt vmcnt(2)
	v_fmac_f64_e32 v[26:27], s[8:9], v[28:29]
	;; [unrolled: 2-line block ×3, first 2 shown]
	v_fmac_f64_e32 v[26:27], s[10:11], v[0:1]
	v_fmac_f64_e32 v[26:27], s[10:11], v[44:45]
	;; [unrolled: 1-line block ×10, first 2 shown]
	s_waitcnt vmcnt(0)
	v_add_f64 v[0:1], v[6:7], v[26:27]
	global_store_dwordx2 v[4:5], v[0:1], off
.LBB9_2:
	s_endpgm
	.section	.rodata,"a",@progbits
	.p2align	6, 0x0
	.amdhsa_kernel _Z5grid5iPKdPd
		.amdhsa_group_segment_fixed_size 0
		.amdhsa_private_segment_fixed_size 0
		.amdhsa_kernarg_size 280
		.amdhsa_user_sgpr_count 6
		.amdhsa_user_sgpr_private_segment_buffer 1
		.amdhsa_user_sgpr_dispatch_ptr 0
		.amdhsa_user_sgpr_queue_ptr 0
		.amdhsa_user_sgpr_kernarg_segment_ptr 1
		.amdhsa_user_sgpr_dispatch_id 0
		.amdhsa_user_sgpr_flat_scratch_init 0
		.amdhsa_user_sgpr_kernarg_preload_length 0
		.amdhsa_user_sgpr_kernarg_preload_offset 0
		.amdhsa_user_sgpr_private_segment_size 0
		.amdhsa_uses_dynamic_stack 0
		.amdhsa_system_sgpr_private_segment_wavefront_offset 0
		.amdhsa_system_sgpr_workgroup_id_x 1
		.amdhsa_system_sgpr_workgroup_id_y 1
		.amdhsa_system_sgpr_workgroup_id_z 0
		.amdhsa_system_sgpr_workgroup_info 0
		.amdhsa_system_vgpr_workitem_id 1
		.amdhsa_next_free_vgpr 84
		.amdhsa_next_free_sgpr 24
		.amdhsa_accum_offset 84
		.amdhsa_reserve_vcc 1
		.amdhsa_reserve_flat_scratch 0
		.amdhsa_float_round_mode_32 0
		.amdhsa_float_round_mode_16_64 0
		.amdhsa_float_denorm_mode_32 3
		.amdhsa_float_denorm_mode_16_64 3
		.amdhsa_dx10_clamp 1
		.amdhsa_ieee_mode 1
		.amdhsa_fp16_overflow 0
		.amdhsa_tg_split 0
		.amdhsa_exception_fp_ieee_invalid_op 0
		.amdhsa_exception_fp_denorm_src 0
		.amdhsa_exception_fp_ieee_div_zero 0
		.amdhsa_exception_fp_ieee_overflow 0
		.amdhsa_exception_fp_ieee_underflow 0
		.amdhsa_exception_fp_ieee_inexact 0
		.amdhsa_exception_int_div_zero 0
	.end_amdhsa_kernel
	.text
.Lfunc_end9:
	.size	_Z5grid5iPKdPd, .Lfunc_end9-_Z5grid5iPKdPd
                                        ; -- End function
	.section	.AMDGPU.csdata,"",@progbits
; Kernel info:
; codeLenInByte = 2196
; NumSgprs: 28
; NumVgprs: 84
; NumAgprs: 0
; TotalNumVgprs: 84
; ScratchSize: 0
; MemoryBound: 0
; FloatMode: 240
; IeeeMode: 1
; LDSByteSize: 0 bytes/workgroup (compile time only)
; SGPRBlocks: 3
; VGPRBlocks: 10
; NumSGPRsForWavesPerEU: 28
; NumVGPRsForWavesPerEU: 84
; AccumOffset: 84
; Occupancy: 5
; WaveLimiterHint : 0
; COMPUTE_PGM_RSRC2:SCRATCH_EN: 0
; COMPUTE_PGM_RSRC2:USER_SGPR: 6
; COMPUTE_PGM_RSRC2:TRAP_HANDLER: 0
; COMPUTE_PGM_RSRC2:TGID_X_EN: 1
; COMPUTE_PGM_RSRC2:TGID_Y_EN: 1
; COMPUTE_PGM_RSRC2:TGID_Z_EN: 0
; COMPUTE_PGM_RSRC2:TIDIG_COMP_CNT: 1
; COMPUTE_PGM_RSRC3_GFX90A:ACCUM_OFFSET: 20
; COMPUTE_PGM_RSRC3_GFX90A:TG_SPLIT: 0
	.text
	.protected	_Z7nothingiPKdPd        ; -- Begin function _Z7nothingiPKdPd
	.globl	_Z7nothingiPKdPd
	.p2align	8
	.type	_Z7nothingiPKdPd,@function
_Z7nothingiPKdPd:                       ; @_Z7nothingiPKdPd
; %bb.0:
	s_endpgm
	.section	.rodata,"a",@progbits
	.p2align	6, 0x0
	.amdhsa_kernel _Z7nothingiPKdPd
		.amdhsa_group_segment_fixed_size 0
		.amdhsa_private_segment_fixed_size 0
		.amdhsa_kernarg_size 24
		.amdhsa_user_sgpr_count 6
		.amdhsa_user_sgpr_private_segment_buffer 1
		.amdhsa_user_sgpr_dispatch_ptr 0
		.amdhsa_user_sgpr_queue_ptr 0
		.amdhsa_user_sgpr_kernarg_segment_ptr 1
		.amdhsa_user_sgpr_dispatch_id 0
		.amdhsa_user_sgpr_flat_scratch_init 0
		.amdhsa_user_sgpr_kernarg_preload_length 0
		.amdhsa_user_sgpr_kernarg_preload_offset 0
		.amdhsa_user_sgpr_private_segment_size 0
		.amdhsa_uses_dynamic_stack 0
		.amdhsa_system_sgpr_private_segment_wavefront_offset 0
		.amdhsa_system_sgpr_workgroup_id_x 1
		.amdhsa_system_sgpr_workgroup_id_y 0
		.amdhsa_system_sgpr_workgroup_id_z 0
		.amdhsa_system_sgpr_workgroup_info 0
		.amdhsa_system_vgpr_workitem_id 0
		.amdhsa_next_free_vgpr 1
		.amdhsa_next_free_sgpr 0
		.amdhsa_accum_offset 4
		.amdhsa_reserve_vcc 0
		.amdhsa_reserve_flat_scratch 0
		.amdhsa_float_round_mode_32 0
		.amdhsa_float_round_mode_16_64 0
		.amdhsa_float_denorm_mode_32 3
		.amdhsa_float_denorm_mode_16_64 3
		.amdhsa_dx10_clamp 1
		.amdhsa_ieee_mode 1
		.amdhsa_fp16_overflow 0
		.amdhsa_tg_split 0
		.amdhsa_exception_fp_ieee_invalid_op 0
		.amdhsa_exception_fp_denorm_src 0
		.amdhsa_exception_fp_ieee_div_zero 0
		.amdhsa_exception_fp_ieee_overflow 0
		.amdhsa_exception_fp_ieee_underflow 0
		.amdhsa_exception_fp_ieee_inexact 0
		.amdhsa_exception_int_div_zero 0
	.end_amdhsa_kernel
	.text
.Lfunc_end10:
	.size	_Z7nothingiPKdPd, .Lfunc_end10-_Z7nothingiPKdPd
                                        ; -- End function
	.section	.AMDGPU.csdata,"",@progbits
; Kernel info:
; codeLenInByte = 4
; NumSgprs: 4
; NumVgprs: 0
; NumAgprs: 0
; TotalNumVgprs: 0
; ScratchSize: 0
; MemoryBound: 0
; FloatMode: 240
; IeeeMode: 1
; LDSByteSize: 0 bytes/workgroup (compile time only)
; SGPRBlocks: 0
; VGPRBlocks: 0
; NumSGPRsForWavesPerEU: 4
; NumVGPRsForWavesPerEU: 1
; AccumOffset: 4
; Occupancy: 8
; WaveLimiterHint : 0
; COMPUTE_PGM_RSRC2:SCRATCH_EN: 0
; COMPUTE_PGM_RSRC2:USER_SGPR: 6
; COMPUTE_PGM_RSRC2:TRAP_HANDLER: 0
; COMPUTE_PGM_RSRC2:TGID_X_EN: 1
; COMPUTE_PGM_RSRC2:TGID_Y_EN: 0
; COMPUTE_PGM_RSRC2:TGID_Z_EN: 0
; COMPUTE_PGM_RSRC2:TIDIG_COMP_CNT: 0
; COMPUTE_PGM_RSRC3_GFX90A:ACCUM_OFFSET: 0
; COMPUTE_PGM_RSRC3_GFX90A:TG_SPLIT: 0
	.text
	.protected	_Z3addiPd               ; -- Begin function _Z3addiPd
	.globl	_Z3addiPd
	.p2align	8
	.type	_Z3addiPd,@function
_Z3addiPd:                              ; @_Z3addiPd
; %bb.0:
	s_load_dword s1, s[4:5], 0x1c
	s_load_dword s0, s[4:5], 0x0
	v_and_b32_e32 v1, 0x3ff, v0
	v_bfe_u32 v0, v0, 10, 10
	s_waitcnt lgkmcnt(0)
	s_lshr_b32 s2, s1, 16
	s_and_b32 s1, s1, 0xffff
	s_mul_i32 s6, s6, s1
	s_mul_i32 s7, s7, s2
	v_add_u32_e32 v1, s6, v1
	v_add_u32_e32 v0, s7, v0
	v_max_u32_e32 v2, v1, v0
	v_cmp_gt_u32_e32 vcc, s0, v2
	s_and_saveexec_b64 s[2:3], vcc
	s_cbranch_execz .LBB11_2
; %bb.1:
	s_load_dwordx2 s[2:3], s[4:5], 0x8
	v_mad_u64_u32 v[0:1], s[0:1], v1, s0, v[0:1]
	v_mov_b32_e32 v1, 0
	v_lshlrev_b64 v[0:1], 3, v[0:1]
	s_waitcnt lgkmcnt(0)
	v_mov_b32_e32 v2, s3
	v_add_co_u32_e32 v0, vcc, s2, v0
	v_addc_co_u32_e32 v1, vcc, v2, v1, vcc
	global_load_dwordx2 v[2:3], v[0:1], off
	s_waitcnt vmcnt(0)
	v_add_f64 v[2:3], v[2:3], 1.0
	global_store_dwordx2 v[0:1], v[2:3], off
.LBB11_2:
	s_endpgm
	.section	.rodata,"a",@progbits
	.p2align	6, 0x0
	.amdhsa_kernel _Z3addiPd
		.amdhsa_group_segment_fixed_size 0
		.amdhsa_private_segment_fixed_size 0
		.amdhsa_kernarg_size 272
		.amdhsa_user_sgpr_count 6
		.amdhsa_user_sgpr_private_segment_buffer 1
		.amdhsa_user_sgpr_dispatch_ptr 0
		.amdhsa_user_sgpr_queue_ptr 0
		.amdhsa_user_sgpr_kernarg_segment_ptr 1
		.amdhsa_user_sgpr_dispatch_id 0
		.amdhsa_user_sgpr_flat_scratch_init 0
		.amdhsa_user_sgpr_kernarg_preload_length 0
		.amdhsa_user_sgpr_kernarg_preload_offset 0
		.amdhsa_user_sgpr_private_segment_size 0
		.amdhsa_uses_dynamic_stack 0
		.amdhsa_system_sgpr_private_segment_wavefront_offset 0
		.amdhsa_system_sgpr_workgroup_id_x 1
		.amdhsa_system_sgpr_workgroup_id_y 1
		.amdhsa_system_sgpr_workgroup_id_z 0
		.amdhsa_system_sgpr_workgroup_info 0
		.amdhsa_system_vgpr_workitem_id 1
		.amdhsa_next_free_vgpr 4
		.amdhsa_next_free_sgpr 8
		.amdhsa_accum_offset 4
		.amdhsa_reserve_vcc 1
		.amdhsa_reserve_flat_scratch 0
		.amdhsa_float_round_mode_32 0
		.amdhsa_float_round_mode_16_64 0
		.amdhsa_float_denorm_mode_32 3
		.amdhsa_float_denorm_mode_16_64 3
		.amdhsa_dx10_clamp 1
		.amdhsa_ieee_mode 1
		.amdhsa_fp16_overflow 0
		.amdhsa_tg_split 0
		.amdhsa_exception_fp_ieee_invalid_op 0
		.amdhsa_exception_fp_denorm_src 0
		.amdhsa_exception_fp_ieee_div_zero 0
		.amdhsa_exception_fp_ieee_overflow 0
		.amdhsa_exception_fp_ieee_underflow 0
		.amdhsa_exception_fp_ieee_inexact 0
		.amdhsa_exception_int_div_zero 0
	.end_amdhsa_kernel
	.text
.Lfunc_end11:
	.size	_Z3addiPd, .Lfunc_end11-_Z3addiPd
                                        ; -- End function
	.section	.AMDGPU.csdata,"",@progbits
; Kernel info:
; codeLenInByte = 156
; NumSgprs: 12
; NumVgprs: 4
; NumAgprs: 0
; TotalNumVgprs: 4
; ScratchSize: 0
; MemoryBound: 0
; FloatMode: 240
; IeeeMode: 1
; LDSByteSize: 0 bytes/workgroup (compile time only)
; SGPRBlocks: 1
; VGPRBlocks: 0
; NumSGPRsForWavesPerEU: 12
; NumVGPRsForWavesPerEU: 4
; AccumOffset: 4
; Occupancy: 8
; WaveLimiterHint : 0
; COMPUTE_PGM_RSRC2:SCRATCH_EN: 0
; COMPUTE_PGM_RSRC2:USER_SGPR: 6
; COMPUTE_PGM_RSRC2:TRAP_HANDLER: 0
; COMPUTE_PGM_RSRC2:TGID_X_EN: 1
; COMPUTE_PGM_RSRC2:TGID_Y_EN: 1
; COMPUTE_PGM_RSRC2:TGID_Z_EN: 0
; COMPUTE_PGM_RSRC2:TIDIG_COMP_CNT: 1
; COMPUTE_PGM_RSRC3_GFX90A:ACCUM_OFFSET: 0
; COMPUTE_PGM_RSRC3_GFX90A:TG_SPLIT: 0
	.text
	.p2alignl 6, 3212836864
	.fill 256, 4, 3212836864
	.type	__hip_cuid_fce10b354567db46,@object ; @__hip_cuid_fce10b354567db46
	.section	.bss,"aw",@nobits
	.globl	__hip_cuid_fce10b354567db46
__hip_cuid_fce10b354567db46:
	.byte	0                               ; 0x0
	.size	__hip_cuid_fce10b354567db46, 1

	.ident	"AMD clang version 19.0.0git (https://github.com/RadeonOpenCompute/llvm-project roc-6.4.0 25133 c7fe45cf4b819c5991fe208aaa96edf142730f1d)"
	.section	".note.GNU-stack","",@progbits
	.addrsig
	.addrsig_sym __hip_cuid_fce10b354567db46
	.amdgpu_metadata
---
amdhsa.kernels:
  - .agpr_count:     0
    .args:
      - .offset:         0
        .size:           4
        .value_kind:     by_value
      - .address_space:  global
        .offset:         8
        .size:           8
        .value_kind:     global_buffer
      - .address_space:  global
        .offset:         16
        .size:           8
        .value_kind:     global_buffer
      - .offset:         24
        .size:           4
        .value_kind:     hidden_block_count_x
      - .offset:         28
        .size:           4
        .value_kind:     hidden_block_count_y
      - .offset:         32
        .size:           4
        .value_kind:     hidden_block_count_z
      - .offset:         36
        .size:           2
        .value_kind:     hidden_group_size_x
      - .offset:         38
        .size:           2
        .value_kind:     hidden_group_size_y
      - .offset:         40
        .size:           2
        .value_kind:     hidden_group_size_z
      - .offset:         42
        .size:           2
        .value_kind:     hidden_remainder_x
      - .offset:         44
        .size:           2
        .value_kind:     hidden_remainder_y
      - .offset:         46
        .size:           2
        .value_kind:     hidden_remainder_z
      - .offset:         64
        .size:           8
        .value_kind:     hidden_global_offset_x
      - .offset:         72
        .size:           8
        .value_kind:     hidden_global_offset_y
      - .offset:         80
        .size:           8
        .value_kind:     hidden_global_offset_z
      - .offset:         88
        .size:           2
        .value_kind:     hidden_grid_dims
    .group_segment_fixed_size: 0
    .kernarg_segment_align: 8
    .kernarg_segment_size: 280
    .language:       OpenCL C
    .language_version:
      - 2
      - 0
    .max_flat_workgroup_size: 1024
    .name:           _Z5star1iPKdPd
    .private_segment_fixed_size: 0
    .sgpr_count:     13
    .sgpr_spill_count: 0
    .symbol:         _Z5star1iPKdPd.kd
    .uniform_work_group_size: 1
    .uses_dynamic_stack: false
    .vgpr_count:     16
    .vgpr_spill_count: 0
    .wavefront_size: 64
  - .agpr_count:     0
    .args:
      - .offset:         0
        .size:           4
        .value_kind:     by_value
      - .address_space:  global
        .offset:         8
        .size:           8
        .value_kind:     global_buffer
      - .address_space:  global
        .offset:         16
        .size:           8
        .value_kind:     global_buffer
      - .offset:         24
        .size:           4
        .value_kind:     hidden_block_count_x
      - .offset:         28
        .size:           4
        .value_kind:     hidden_block_count_y
      - .offset:         32
        .size:           4
        .value_kind:     hidden_block_count_z
      - .offset:         36
        .size:           2
        .value_kind:     hidden_group_size_x
      - .offset:         38
        .size:           2
        .value_kind:     hidden_group_size_y
      - .offset:         40
        .size:           2
        .value_kind:     hidden_group_size_z
      - .offset:         42
        .size:           2
        .value_kind:     hidden_remainder_x
      - .offset:         44
        .size:           2
        .value_kind:     hidden_remainder_y
      - .offset:         46
        .size:           2
        .value_kind:     hidden_remainder_z
      - .offset:         64
        .size:           8
        .value_kind:     hidden_global_offset_x
      - .offset:         72
        .size:           8
        .value_kind:     hidden_global_offset_y
      - .offset:         80
        .size:           8
        .value_kind:     hidden_global_offset_z
      - .offset:         88
        .size:           2
        .value_kind:     hidden_grid_dims
    .group_segment_fixed_size: 0
    .kernarg_segment_align: 8
    .kernarg_segment_size: 280
    .language:       OpenCL C
    .language_version:
      - 2
      - 0
    .max_flat_workgroup_size: 1024
    .name:           _Z5star2iPKdPd
    .private_segment_fixed_size: 0
    .sgpr_count:     13
    .sgpr_spill_count: 0
    .symbol:         _Z5star2iPKdPd.kd
    .uniform_work_group_size: 1
    .uses_dynamic_stack: false
    .vgpr_count:     28
    .vgpr_spill_count: 0
    .wavefront_size: 64
  - .agpr_count:     0
    .args:
      - .offset:         0
        .size:           4
        .value_kind:     by_value
      - .address_space:  global
        .offset:         8
        .size:           8
        .value_kind:     global_buffer
      - .address_space:  global
        .offset:         16
        .size:           8
        .value_kind:     global_buffer
      - .offset:         24
        .size:           4
        .value_kind:     hidden_block_count_x
      - .offset:         28
        .size:           4
        .value_kind:     hidden_block_count_y
      - .offset:         32
        .size:           4
        .value_kind:     hidden_block_count_z
      - .offset:         36
        .size:           2
        .value_kind:     hidden_group_size_x
      - .offset:         38
        .size:           2
        .value_kind:     hidden_group_size_y
      - .offset:         40
        .size:           2
        .value_kind:     hidden_group_size_z
      - .offset:         42
        .size:           2
        .value_kind:     hidden_remainder_x
      - .offset:         44
        .size:           2
        .value_kind:     hidden_remainder_y
      - .offset:         46
        .size:           2
        .value_kind:     hidden_remainder_z
      - .offset:         64
        .size:           8
        .value_kind:     hidden_global_offset_x
      - .offset:         72
        .size:           8
        .value_kind:     hidden_global_offset_y
      - .offset:         80
        .size:           8
        .value_kind:     hidden_global_offset_z
      - .offset:         88
        .size:           2
        .value_kind:     hidden_grid_dims
    .group_segment_fixed_size: 0
    .kernarg_segment_align: 8
    .kernarg_segment_size: 280
    .language:       OpenCL C
    .language_version:
      - 2
      - 0
    .max_flat_workgroup_size: 1024
    .name:           _Z5star3iPKdPd
    .private_segment_fixed_size: 0
    .sgpr_count:     13
    .sgpr_spill_count: 0
    .symbol:         _Z5star3iPKdPd.kd
    .uniform_work_group_size: 1
    .uses_dynamic_stack: false
    .vgpr_count:     32
    .vgpr_spill_count: 0
    .wavefront_size: 64
  - .agpr_count:     0
    .args:
      - .offset:         0
        .size:           4
        .value_kind:     by_value
      - .address_space:  global
        .offset:         8
        .size:           8
        .value_kind:     global_buffer
      - .address_space:  global
        .offset:         16
        .size:           8
        .value_kind:     global_buffer
      - .offset:         24
        .size:           4
        .value_kind:     hidden_block_count_x
      - .offset:         28
        .size:           4
        .value_kind:     hidden_block_count_y
      - .offset:         32
        .size:           4
        .value_kind:     hidden_block_count_z
      - .offset:         36
        .size:           2
        .value_kind:     hidden_group_size_x
      - .offset:         38
        .size:           2
        .value_kind:     hidden_group_size_y
      - .offset:         40
        .size:           2
        .value_kind:     hidden_group_size_z
      - .offset:         42
        .size:           2
        .value_kind:     hidden_remainder_x
      - .offset:         44
        .size:           2
        .value_kind:     hidden_remainder_y
      - .offset:         46
        .size:           2
        .value_kind:     hidden_remainder_z
      - .offset:         64
        .size:           8
        .value_kind:     hidden_global_offset_x
      - .offset:         72
        .size:           8
        .value_kind:     hidden_global_offset_y
      - .offset:         80
        .size:           8
        .value_kind:     hidden_global_offset_z
      - .offset:         88
        .size:           2
        .value_kind:     hidden_grid_dims
    .group_segment_fixed_size: 0
    .kernarg_segment_align: 8
    .kernarg_segment_size: 280
    .language:       OpenCL C
    .language_version:
      - 2
      - 0
    .max_flat_workgroup_size: 1024
    .name:           _Z5star4iPKdPd
    .private_segment_fixed_size: 0
    .sgpr_count:     13
    .sgpr_spill_count: 0
    .symbol:         _Z5star4iPKdPd.kd
    .uniform_work_group_size: 1
    .uses_dynamic_stack: false
    .vgpr_count:     44
    .vgpr_spill_count: 0
    .wavefront_size: 64
  - .agpr_count:     0
    .args:
      - .offset:         0
        .size:           4
        .value_kind:     by_value
      - .address_space:  global
        .offset:         8
        .size:           8
        .value_kind:     global_buffer
      - .address_space:  global
        .offset:         16
        .size:           8
        .value_kind:     global_buffer
      - .offset:         24
        .size:           4
        .value_kind:     hidden_block_count_x
      - .offset:         28
        .size:           4
        .value_kind:     hidden_block_count_y
      - .offset:         32
        .size:           4
        .value_kind:     hidden_block_count_z
      - .offset:         36
        .size:           2
        .value_kind:     hidden_group_size_x
      - .offset:         38
        .size:           2
        .value_kind:     hidden_group_size_y
      - .offset:         40
        .size:           2
        .value_kind:     hidden_group_size_z
      - .offset:         42
        .size:           2
        .value_kind:     hidden_remainder_x
      - .offset:         44
        .size:           2
        .value_kind:     hidden_remainder_y
      - .offset:         46
        .size:           2
        .value_kind:     hidden_remainder_z
      - .offset:         64
        .size:           8
        .value_kind:     hidden_global_offset_x
      - .offset:         72
        .size:           8
        .value_kind:     hidden_global_offset_y
      - .offset:         80
        .size:           8
        .value_kind:     hidden_global_offset_z
      - .offset:         88
        .size:           2
        .value_kind:     hidden_grid_dims
    .group_segment_fixed_size: 0
    .kernarg_segment_align: 8
    .kernarg_segment_size: 280
    .language:       OpenCL C
    .language_version:
      - 2
      - 0
    .max_flat_workgroup_size: 1024
    .name:           _Z5star5iPKdPd
    .private_segment_fixed_size: 0
    .sgpr_count:     14
    .sgpr_spill_count: 0
    .symbol:         _Z5star5iPKdPd.kd
    .uniform_work_group_size: 1
    .uses_dynamic_stack: false
    .vgpr_count:     48
    .vgpr_spill_count: 0
    .wavefront_size: 64
  - .agpr_count:     0
    .args:
      - .offset:         0
        .size:           4
        .value_kind:     by_value
      - .address_space:  global
        .offset:         8
        .size:           8
        .value_kind:     global_buffer
      - .address_space:  global
        .offset:         16
        .size:           8
        .value_kind:     global_buffer
      - .offset:         24
        .size:           4
        .value_kind:     hidden_block_count_x
      - .offset:         28
        .size:           4
        .value_kind:     hidden_block_count_y
      - .offset:         32
        .size:           4
        .value_kind:     hidden_block_count_z
      - .offset:         36
        .size:           2
        .value_kind:     hidden_group_size_x
      - .offset:         38
        .size:           2
        .value_kind:     hidden_group_size_y
      - .offset:         40
        .size:           2
        .value_kind:     hidden_group_size_z
      - .offset:         42
        .size:           2
        .value_kind:     hidden_remainder_x
      - .offset:         44
        .size:           2
        .value_kind:     hidden_remainder_y
      - .offset:         46
        .size:           2
        .value_kind:     hidden_remainder_z
      - .offset:         64
        .size:           8
        .value_kind:     hidden_global_offset_x
      - .offset:         72
        .size:           8
        .value_kind:     hidden_global_offset_y
      - .offset:         80
        .size:           8
        .value_kind:     hidden_global_offset_z
      - .offset:         88
        .size:           2
        .value_kind:     hidden_grid_dims
    .group_segment_fixed_size: 0
    .kernarg_segment_align: 8
    .kernarg_segment_size: 280
    .language:       OpenCL C
    .language_version:
      - 2
      - 0
    .max_flat_workgroup_size: 1024
    .name:           _Z5grid1iPKdPd
    .private_segment_fixed_size: 0
    .sgpr_count:     13
    .sgpr_spill_count: 0
    .symbol:         _Z5grid1iPKdPd.kd
    .uniform_work_group_size: 1
    .uses_dynamic_stack: false
    .vgpr_count:     20
    .vgpr_spill_count: 0
    .wavefront_size: 64
  - .agpr_count:     0
    .args:
      - .offset:         0
        .size:           4
        .value_kind:     by_value
      - .address_space:  global
        .offset:         8
        .size:           8
        .value_kind:     global_buffer
      - .address_space:  global
        .offset:         16
        .size:           8
        .value_kind:     global_buffer
      - .offset:         24
        .size:           4
        .value_kind:     hidden_block_count_x
      - .offset:         28
        .size:           4
        .value_kind:     hidden_block_count_y
      - .offset:         32
        .size:           4
        .value_kind:     hidden_block_count_z
      - .offset:         36
        .size:           2
        .value_kind:     hidden_group_size_x
      - .offset:         38
        .size:           2
        .value_kind:     hidden_group_size_y
      - .offset:         40
        .size:           2
        .value_kind:     hidden_group_size_z
      - .offset:         42
        .size:           2
        .value_kind:     hidden_remainder_x
      - .offset:         44
        .size:           2
        .value_kind:     hidden_remainder_y
      - .offset:         46
        .size:           2
        .value_kind:     hidden_remainder_z
      - .offset:         64
        .size:           8
        .value_kind:     hidden_global_offset_x
      - .offset:         72
        .size:           8
        .value_kind:     hidden_global_offset_y
      - .offset:         80
        .size:           8
        .value_kind:     hidden_global_offset_z
      - .offset:         88
        .size:           2
        .value_kind:     hidden_grid_dims
    .group_segment_fixed_size: 0
    .kernarg_segment_align: 8
    .kernarg_segment_size: 280
    .language:       OpenCL C
    .language_version:
      - 2
      - 0
    .max_flat_workgroup_size: 1024
    .name:           _Z5grid2iPKdPd
    .private_segment_fixed_size: 0
    .sgpr_count:     13
    .sgpr_spill_count: 0
    .symbol:         _Z5grid2iPKdPd.kd
    .uniform_work_group_size: 1
    .uses_dynamic_stack: false
    .vgpr_count:     51
    .vgpr_spill_count: 0
    .wavefront_size: 64
  - .agpr_count:     0
    .args:
      - .offset:         0
        .size:           4
        .value_kind:     by_value
      - .address_space:  global
        .offset:         8
        .size:           8
        .value_kind:     global_buffer
      - .address_space:  global
        .offset:         16
        .size:           8
        .value_kind:     global_buffer
      - .offset:         24
        .size:           4
        .value_kind:     hidden_block_count_x
      - .offset:         28
        .size:           4
        .value_kind:     hidden_block_count_y
      - .offset:         32
        .size:           4
        .value_kind:     hidden_block_count_z
      - .offset:         36
        .size:           2
        .value_kind:     hidden_group_size_x
      - .offset:         38
        .size:           2
        .value_kind:     hidden_group_size_y
      - .offset:         40
        .size:           2
        .value_kind:     hidden_group_size_z
      - .offset:         42
        .size:           2
        .value_kind:     hidden_remainder_x
      - .offset:         44
        .size:           2
        .value_kind:     hidden_remainder_y
      - .offset:         46
        .size:           2
        .value_kind:     hidden_remainder_z
      - .offset:         64
        .size:           8
        .value_kind:     hidden_global_offset_x
      - .offset:         72
        .size:           8
        .value_kind:     hidden_global_offset_y
      - .offset:         80
        .size:           8
        .value_kind:     hidden_global_offset_z
      - .offset:         88
        .size:           2
        .value_kind:     hidden_grid_dims
    .group_segment_fixed_size: 0
    .kernarg_segment_align: 8
    .kernarg_segment_size: 280
    .language:       OpenCL C
    .language_version:
      - 2
      - 0
    .max_flat_workgroup_size: 1024
    .name:           _Z5grid3iPKdPd
    .private_segment_fixed_size: 0
    .sgpr_count:     14
    .sgpr_spill_count: 0
    .symbol:         _Z5grid3iPKdPd.kd
    .uniform_work_group_size: 1
    .uses_dynamic_stack: false
    .vgpr_count:     64
    .vgpr_spill_count: 0
    .wavefront_size: 64
  - .agpr_count:     0
    .args:
      - .offset:         0
        .size:           4
        .value_kind:     by_value
      - .address_space:  global
        .offset:         8
        .size:           8
        .value_kind:     global_buffer
      - .address_space:  global
        .offset:         16
        .size:           8
        .value_kind:     global_buffer
      - .offset:         24
        .size:           4
        .value_kind:     hidden_block_count_x
      - .offset:         28
        .size:           4
        .value_kind:     hidden_block_count_y
      - .offset:         32
        .size:           4
        .value_kind:     hidden_block_count_z
      - .offset:         36
        .size:           2
        .value_kind:     hidden_group_size_x
      - .offset:         38
        .size:           2
        .value_kind:     hidden_group_size_y
      - .offset:         40
        .size:           2
        .value_kind:     hidden_group_size_z
      - .offset:         42
        .size:           2
        .value_kind:     hidden_remainder_x
      - .offset:         44
        .size:           2
        .value_kind:     hidden_remainder_y
      - .offset:         46
        .size:           2
        .value_kind:     hidden_remainder_z
      - .offset:         64
        .size:           8
        .value_kind:     hidden_global_offset_x
      - .offset:         72
        .size:           8
        .value_kind:     hidden_global_offset_y
      - .offset:         80
        .size:           8
        .value_kind:     hidden_global_offset_z
      - .offset:         88
        .size:           2
        .value_kind:     hidden_grid_dims
    .group_segment_fixed_size: 0
    .kernarg_segment_align: 8
    .kernarg_segment_size: 280
    .language:       OpenCL C
    .language_version:
      - 2
      - 0
    .max_flat_workgroup_size: 1024
    .name:           _Z5grid4iPKdPd
    .private_segment_fixed_size: 0
    .sgpr_count:     18
    .sgpr_spill_count: 0
    .symbol:         _Z5grid4iPKdPd.kd
    .uniform_work_group_size: 1
    .uses_dynamic_stack: false
    .vgpr_count:     68
    .vgpr_spill_count: 0
    .wavefront_size: 64
  - .agpr_count:     0
    .args:
      - .offset:         0
        .size:           4
        .value_kind:     by_value
      - .address_space:  global
        .offset:         8
        .size:           8
        .value_kind:     global_buffer
      - .address_space:  global
        .offset:         16
        .size:           8
        .value_kind:     global_buffer
      - .offset:         24
        .size:           4
        .value_kind:     hidden_block_count_x
      - .offset:         28
        .size:           4
        .value_kind:     hidden_block_count_y
      - .offset:         32
        .size:           4
        .value_kind:     hidden_block_count_z
      - .offset:         36
        .size:           2
        .value_kind:     hidden_group_size_x
      - .offset:         38
        .size:           2
        .value_kind:     hidden_group_size_y
      - .offset:         40
        .size:           2
        .value_kind:     hidden_group_size_z
      - .offset:         42
        .size:           2
        .value_kind:     hidden_remainder_x
      - .offset:         44
        .size:           2
        .value_kind:     hidden_remainder_y
      - .offset:         46
        .size:           2
        .value_kind:     hidden_remainder_z
      - .offset:         64
        .size:           8
        .value_kind:     hidden_global_offset_x
      - .offset:         72
        .size:           8
        .value_kind:     hidden_global_offset_y
      - .offset:         80
        .size:           8
        .value_kind:     hidden_global_offset_z
      - .offset:         88
        .size:           2
        .value_kind:     hidden_grid_dims
    .group_segment_fixed_size: 0
    .kernarg_segment_align: 8
    .kernarg_segment_size: 280
    .language:       OpenCL C
    .language_version:
      - 2
      - 0
    .max_flat_workgroup_size: 1024
    .name:           _Z5grid5iPKdPd
    .private_segment_fixed_size: 0
    .sgpr_count:     28
    .sgpr_spill_count: 0
    .symbol:         _Z5grid5iPKdPd.kd
    .uniform_work_group_size: 1
    .uses_dynamic_stack: false
    .vgpr_count:     84
    .vgpr_spill_count: 0
    .wavefront_size: 64
  - .agpr_count:     0
    .args:
      - .offset:         0
        .size:           4
        .value_kind:     by_value
      - .address_space:  global
        .offset:         8
        .size:           8
        .value_kind:     global_buffer
      - .address_space:  global
        .offset:         16
        .size:           8
        .value_kind:     global_buffer
    .group_segment_fixed_size: 0
    .kernarg_segment_align: 8
    .kernarg_segment_size: 24
    .language:       OpenCL C
    .language_version:
      - 2
      - 0
    .max_flat_workgroup_size: 1024
    .name:           _Z7nothingiPKdPd
    .private_segment_fixed_size: 0
    .sgpr_count:     4
    .sgpr_spill_count: 0
    .symbol:         _Z7nothingiPKdPd.kd
    .uniform_work_group_size: 1
    .uses_dynamic_stack: false
    .vgpr_count:     0
    .vgpr_spill_count: 0
    .wavefront_size: 64
  - .agpr_count:     0
    .args:
      - .offset:         0
        .size:           4
        .value_kind:     by_value
      - .address_space:  global
        .offset:         8
        .size:           8
        .value_kind:     global_buffer
      - .offset:         16
        .size:           4
        .value_kind:     hidden_block_count_x
      - .offset:         20
        .size:           4
        .value_kind:     hidden_block_count_y
      - .offset:         24
        .size:           4
        .value_kind:     hidden_block_count_z
      - .offset:         28
        .size:           2
        .value_kind:     hidden_group_size_x
      - .offset:         30
        .size:           2
        .value_kind:     hidden_group_size_y
      - .offset:         32
        .size:           2
        .value_kind:     hidden_group_size_z
      - .offset:         34
        .size:           2
        .value_kind:     hidden_remainder_x
      - .offset:         36
        .size:           2
        .value_kind:     hidden_remainder_y
      - .offset:         38
        .size:           2
        .value_kind:     hidden_remainder_z
      - .offset:         56
        .size:           8
        .value_kind:     hidden_global_offset_x
      - .offset:         64
        .size:           8
        .value_kind:     hidden_global_offset_y
      - .offset:         72
        .size:           8
        .value_kind:     hidden_global_offset_z
      - .offset:         80
        .size:           2
        .value_kind:     hidden_grid_dims
    .group_segment_fixed_size: 0
    .kernarg_segment_align: 8
    .kernarg_segment_size: 272
    .language:       OpenCL C
    .language_version:
      - 2
      - 0
    .max_flat_workgroup_size: 1024
    .name:           _Z3addiPd
    .private_segment_fixed_size: 0
    .sgpr_count:     12
    .sgpr_spill_count: 0
    .symbol:         _Z3addiPd.kd
    .uniform_work_group_size: 1
    .uses_dynamic_stack: false
    .vgpr_count:     4
    .vgpr_spill_count: 0
    .wavefront_size: 64
amdhsa.target:   amdgcn-amd-amdhsa--gfx90a
amdhsa.version:
  - 1
  - 2
...

	.end_amdgpu_metadata
